;; amdgpu-corpus repo=pytorch/pytorch kind=compiled arch=gfx1100 opt=O3
	.text
	.amdgcn_target "amdgcn-amd-amdhsa--gfx1100"
	.amdhsa_code_object_version 6
	.section	.text._ZN7rocprim17ROCPRIM_304000_NS6detail28radix_sort_block_sort_kernelINS1_36wrapped_radix_sort_block_sort_configINS0_13kernel_configILj256ELj4ELj4294967295EEElN2at4cuda3cub6detail10OpaqueTypeILi1EEEEELb1EPKlPlPKSB_PSB_NS0_19identity_decomposerEEEvT1_T2_T3_T4_jT5_jj,"axG",@progbits,_ZN7rocprim17ROCPRIM_304000_NS6detail28radix_sort_block_sort_kernelINS1_36wrapped_radix_sort_block_sort_configINS0_13kernel_configILj256ELj4ELj4294967295EEElN2at4cuda3cub6detail10OpaqueTypeILi1EEEEELb1EPKlPlPKSB_PSB_NS0_19identity_decomposerEEEvT1_T2_T3_T4_jT5_jj,comdat
	.protected	_ZN7rocprim17ROCPRIM_304000_NS6detail28radix_sort_block_sort_kernelINS1_36wrapped_radix_sort_block_sort_configINS0_13kernel_configILj256ELj4ELj4294967295EEElN2at4cuda3cub6detail10OpaqueTypeILi1EEEEELb1EPKlPlPKSB_PSB_NS0_19identity_decomposerEEEvT1_T2_T3_T4_jT5_jj ; -- Begin function _ZN7rocprim17ROCPRIM_304000_NS6detail28radix_sort_block_sort_kernelINS1_36wrapped_radix_sort_block_sort_configINS0_13kernel_configILj256ELj4ELj4294967295EEElN2at4cuda3cub6detail10OpaqueTypeILi1EEEEELb1EPKlPlPKSB_PSB_NS0_19identity_decomposerEEEvT1_T2_T3_T4_jT5_jj
	.globl	_ZN7rocprim17ROCPRIM_304000_NS6detail28radix_sort_block_sort_kernelINS1_36wrapped_radix_sort_block_sort_configINS0_13kernel_configILj256ELj4ELj4294967295EEElN2at4cuda3cub6detail10OpaqueTypeILi1EEEEELb1EPKlPlPKSB_PSB_NS0_19identity_decomposerEEEvT1_T2_T3_T4_jT5_jj
	.p2align	8
	.type	_ZN7rocprim17ROCPRIM_304000_NS6detail28radix_sort_block_sort_kernelINS1_36wrapped_radix_sort_block_sort_configINS0_13kernel_configILj256ELj4ELj4294967295EEElN2at4cuda3cub6detail10OpaqueTypeILi1EEEEELb1EPKlPlPKSB_PSB_NS0_19identity_decomposerEEEvT1_T2_T3_T4_jT5_jj,@function
_ZN7rocprim17ROCPRIM_304000_NS6detail28radix_sort_block_sort_kernelINS1_36wrapped_radix_sort_block_sort_configINS0_13kernel_configILj256ELj4ELj4294967295EEElN2at4cuda3cub6detail10OpaqueTypeILi1EEEEELb1EPKlPlPKSB_PSB_NS0_19identity_decomposerEEEvT1_T2_T3_T4_jT5_jj: ; @_ZN7rocprim17ROCPRIM_304000_NS6detail28radix_sort_block_sort_kernelINS1_36wrapped_radix_sort_block_sort_configINS0_13kernel_configILj256ELj4ELj4294967295EEElN2at4cuda3cub6detail10OpaqueTypeILi1EEEEELb1EPKlPlPKSB_PSB_NS0_19identity_decomposerEEEvT1_T2_T3_T4_jT5_jj
; %bb.0:
	s_clause 0x1
	s_load_b32 s2, s[0:1], 0x20
	s_load_b256 s[16:23], s[0:1], 0x0
	v_and_b32_e32 v9, 0x3ff, v0
	v_mbcnt_lo_u32_b32 v12, -1, 0
	s_lshl_b32 s24, s15, 10
	s_mov_b32 s25, 0
	s_delay_alu instid0(VALU_DEP_2) | instskip(NEXT) | instid1(VALU_DEP_1)
	v_lshlrev_b32_e32 v1, 2, v9
	v_and_b32_e32 v14, 0x380, v1
	v_lshlrev_b32_e32 v1, 3, v12
	s_delay_alu instid0(VALU_DEP_2) | instskip(SKIP_3) | instid1(SALU_CYCLE_1)
	v_lshlrev_b32_e32 v2, 3, v14
	v_add_nc_u32_e32 v13, v12, v14
	s_waitcnt lgkmcnt(0)
	s_lshr_b32 s3, s2, 10
	s_cmp_lg_u32 s15, s3
	s_cselect_b32 s28, -1, 0
	s_lshl_b64 s[26:27], s[24:25], 3
	s_delay_alu instid0(SALU_CYCLE_1) | instskip(SKIP_2) | instid1(VALU_DEP_1)
	s_add_u32 s4, s16, s26
	s_addc_u32 s5, s17, s27
	v_add_co_u32 v1, s4, s4, v1
	v_add_co_ci_u32_e64 v3, null, s5, 0, s4
	s_cmp_eq_u32 s15, s3
	s_delay_alu instid0(VALU_DEP_2) | instskip(NEXT) | instid1(VALU_DEP_2)
	v_add_co_u32 v10, vcc_lo, v1, v2
	v_add_co_ci_u32_e32 v11, vcc_lo, 0, v3, vcc_lo
	s_mov_b32 s3, -1
	s_cbranch_scc1 .LBB0_2
; %bb.1:
	s_add_u32 s3, s20, s24
	s_addc_u32 s4, s21, 0
	v_add_co_u32 v1, s3, s3, v12
	s_delay_alu instid0(VALU_DEP_1) | instskip(SKIP_1) | instid1(VALU_DEP_3)
	v_add_co_ci_u32_e64 v2, null, s4, 0, s3
	v_add_nc_u32_e32 v27, v12, v14
	v_add_co_u32 v15, vcc_lo, v1, v14
	s_delay_alu instid0(VALU_DEP_3)
	v_add_co_ci_u32_e32 v16, vcc_lo, 0, v2, vcc_lo
	s_clause 0x3
	global_load_b64 v[1:2], v[10:11], off
	global_load_b64 v[3:4], v[10:11], off offset:256
	global_load_b64 v[5:6], v[10:11], off offset:512
	;; [unrolled: 1-line block ×3, first 2 shown]
	s_clause 0x3
	global_load_u8 v42, v[15:16], off
	global_load_u8 v43, v[15:16], off offset:32
	global_load_u8 v44, v[15:16], off offset:64
	;; [unrolled: 1-line block ×3, first 2 shown]
	v_add_nc_u32_e32 v24, 32, v27
	v_add_nc_u32_e32 v25, 64, v27
	v_add_nc_u32_e32 v26, 0x60, v27
	s_mov_b32 s3, s25
	s_delay_alu instid0(SALU_CYCLE_1)
	s_and_not1_b32 vcc_lo, exec_lo, s3
	s_sub_i32 s16, s2, s24
	s_cbranch_vccz .LBB0_3
	s_branch .LBB0_17
.LBB0_2:
                                        ; implicit-def: $vgpr1_vgpr2_vgpr3_vgpr4_vgpr5_vgpr6_vgpr7_vgpr8
                                        ; implicit-def: $vgpr42
                                        ; implicit-def: $vgpr43
                                        ; implicit-def: $vgpr44
                                        ; implicit-def: $vgpr45
                                        ; implicit-def: $vgpr27
                                        ; implicit-def: $vgpr24
                                        ; implicit-def: $vgpr25
                                        ; implicit-def: $vgpr26
	s_and_not1_b32 vcc_lo, exec_lo, s3
	s_sub_i32 s16, s2, s24
	s_cbranch_vccnz .LBB0_17
.LBB0_3:
	s_mov_b32 s4, 0
	s_brev_b32 s5, 1
	s_mov_b32 s6, s4
	s_mov_b32 s7, s5
	;; [unrolled: 1-line block ×6, first 2 shown]
	s_waitcnt vmcnt(4)
	v_dual_mov_b32 v1, s4 :: v_dual_mov_b32 v2, s5
	v_cmp_gt_u32_e32 vcc_lo, s16, v13
	v_dual_mov_b32 v3, s6 :: v_dual_mov_b32 v4, s7
	v_dual_mov_b32 v5, s8 :: v_dual_mov_b32 v6, s9
	;; [unrolled: 1-line block ×3, first 2 shown]
	s_and_saveexec_b32 s2, vcc_lo
	s_cbranch_execz .LBB0_5
; %bb.4:
	global_load_b64 v[1:2], v[10:11], off
	v_bfrev_b32_e32 v4, 1
	s_delay_alu instid0(VALU_DEP_1) | instskip(NEXT) | instid1(VALU_DEP_1)
	v_dual_mov_b32 v3, 0 :: v_dual_mov_b32 v6, v4
	v_dual_mov_b32 v5, v3 :: v_dual_mov_b32 v8, v4
	v_mov_b32_e32 v7, v3
.LBB0_5:
	s_or_b32 exec_lo, exec_lo, s2
	v_add_nc_u32_e32 v24, 32, v13
	s_delay_alu instid0(VALU_DEP_1) | instskip(NEXT) | instid1(VALU_DEP_1)
	v_cmp_gt_u32_e64 s2, s16, v24
	s_and_saveexec_b32 s3, s2
	s_cbranch_execz .LBB0_7
; %bb.6:
	global_load_b64 v[3:4], v[10:11], off offset:256
.LBB0_7:
	s_or_b32 exec_lo, exec_lo, s3
	v_add_nc_u32_e32 v25, 64, v13
	s_delay_alu instid0(VALU_DEP_1) | instskip(NEXT) | instid1(VALU_DEP_1)
	v_cmp_gt_u32_e64 s3, s16, v25
	s_and_saveexec_b32 s4, s3
	s_cbranch_execz .LBB0_9
; %bb.8:
	global_load_b64 v[5:6], v[10:11], off offset:512
.LBB0_9:
	;; [unrolled: 9-line block ×3, first 2 shown]
	s_or_b32 exec_lo, exec_lo, s5
	s_add_u32 s5, s20, s24
	s_addc_u32 s6, s21, 0
	v_add_co_u32 v10, s5, s5, v12
	s_delay_alu instid0(VALU_DEP_1) | instskip(NEXT) | instid1(VALU_DEP_2)
	v_add_co_ci_u32_e64 v11, null, s6, 0, s5
                                        ; implicit-def: $vgpr42
	v_add_co_u32 v10, s5, v10, v14
	s_delay_alu instid0(VALU_DEP_1)
	v_add_co_ci_u32_e64 v11, s5, 0, v11, s5
	s_and_saveexec_b32 s5, vcc_lo
	s_cbranch_execnz .LBB0_54
; %bb.12:
	s_or_b32 exec_lo, exec_lo, s5
                                        ; implicit-def: $vgpr43
	s_and_saveexec_b32 s5, s2
	s_cbranch_execnz .LBB0_55
.LBB0_13:
	s_or_b32 exec_lo, exec_lo, s5
                                        ; implicit-def: $vgpr44
	s_and_saveexec_b32 s2, s3
	s_cbranch_execnz .LBB0_56
.LBB0_14:
	s_or_b32 exec_lo, exec_lo, s2
                                        ; implicit-def: $vgpr45
	s_and_saveexec_b32 s2, s4
	s_cbranch_execz .LBB0_16
.LBB0_15:
	global_load_u8 v45, v[10:11], off offset:96
.LBB0_16:
	s_or_b32 exec_lo, exec_lo, s2
	v_mov_b32_e32 v27, v13
.LBB0_17:
	s_clause 0x1
	s_load_b32 s3, s[0:1], 0x3c
	s_load_b64 s[14:15], s[0:1], 0x28
	s_mov_b32 s20, 0
	s_waitcnt vmcnt(0)
	v_xor_b32_e32 v22, -1, v1
	v_xor_b32_e32 v1, -1, v3
	;; [unrolled: 1-line block ×4, first 2 shown]
	v_bfe_u32 v7, v0, 10, 10
	v_bfe_u32 v0, v0, 20, 10
	s_mov_b32 s30, s20
	s_mov_b32 s31, s20
	v_and_b32_e32 v10, 0x3e0, v9
	v_add_nc_u32_e32 v15, -1, v12
	v_xor_b32_e32 v23, 0x7fffffff, v2
	v_xor_b32_e32 v2, 0x7fffffff, v4
	;; [unrolled: 1-line block ×4, first 2 shown]
	v_cmp_gt_i32_e32 vcc_lo, 0, v15
	v_lshlrev_b32_e32 v8, 5, v9
	s_mov_b32 s21, s20
	s_waitcnt lgkmcnt(0)
	s_lshr_b32 s2, s3, 16
	s_and_b32 s3, s3, 0xffff
	v_mad_u32_u24 v0, v0, s2, v7
	v_min_u32_e32 v7, 0xe0, v10
	v_and_b32_e32 v13, 15, v12
	v_and_b32_e32 v14, 16, v12
	v_cmp_eq_u32_e64 s8, 0, v12
	v_mad_u64_u32 v[10:11], null, v0, s3, v[9:10]
	v_or_b32_e32 v0, 31, v7
	v_cndmask_b32_e32 v7, v15, v12, vcc_lo
	v_cmp_gt_u32_e64 s0, 8, v9
	v_add_nc_u32_e32 v28, 32, v8
	v_cmp_lt_u32_e64 s7, 31, v9
	v_cmp_eq_u32_e64 s6, v0, v9
	v_lshrrev_b32_e32 v0, 3, v9
	v_lshlrev_b32_e32 v30, 2, v7
	v_and_b32_e32 v7, 7, v12
	v_lshrrev_b32_e32 v29, 5, v10
	v_dual_mov_b32 v10, s20 :: v_dual_mov_b32 v11, s21
	v_and_b32_e32 v31, 0x7c, v0
	v_mul_i32_i24_e32 v0, 0xffffffe4, v9
	v_cmp_eq_u32_e64 s1, 0, v13
	v_cmp_lt_u32_e64 s2, 1, v13
	v_cmp_lt_u32_e64 s3, 3, v13
	;; [unrolled: 1-line block ×3, first 2 shown]
	v_mov_b32_e32 v12, s30
	v_cmp_eq_u32_e64 s5, 0, v14
	v_cmp_eq_u32_e64 s9, 0, v9
	;; [unrolled: 1-line block ×3, first 2 shown]
	v_cmp_lt_u32_e64 s11, 1, v7
	v_cmp_lt_u32_e64 s12, 3, v7
	v_add_nc_u32_e32 v32, -4, v31
	v_lshlrev_b32_e32 v33, 3, v27
	v_lshlrev_b32_e32 v34, 3, v24
	;; [unrolled: 1-line block ×3, first 2 shown]
	v_dual_mov_b32 v13, s31 :: v_dual_lshlrev_b32 v36, 3, v26
	v_add_nc_u32_e32 v37, v8, v0
	s_add_i32 s17, s15, s14
	s_branch .LBB0_19
.LBB0_18:                               ;   in Loop: Header=BB0_19 Depth=1
	s_barrier
	buffer_gl0_inv
	ds_store_b64 v49, v[14:15]
	ds_store_b64 v50, v[20:21]
	;; [unrolled: 1-line block ×4, first 2 shown]
	s_waitcnt lgkmcnt(0)
	s_barrier
	buffer_gl0_inv
	ds_load_b64 v[22:23], v33
	ds_load_b64 v[1:2], v34
	;; [unrolled: 1-line block ×4, first 2 shown]
	s_waitcnt lgkmcnt(0)
	s_barrier
	buffer_gl0_inv
	ds_store_b8 v0, v41
	ds_store_b8 v7, v40
	;; [unrolled: 1-line block ×4, first 2 shown]
	s_waitcnt lgkmcnt(0)
	s_barrier
	buffer_gl0_inv
	ds_load_u8 v42, v27
	ds_load_u8 v43, v24
	;; [unrolled: 1-line block ×4, first 2 shown]
	s_add_i32 s15, s15, -8
	s_waitcnt lgkmcnt(0)
	s_barrier
	buffer_gl0_inv
	s_cbranch_execz .LBB0_35
.LBB0_19:                               ; =>This Inner Loop Header: Depth=1
	v_dual_mov_b32 v14, v22 :: v_dual_mov_b32 v15, v23
	s_min_u32 s13, s15, 8
	v_mov_b32_e32 v38, v45
	s_lshl_b32 s13, -1, s13
	ds_store_2addr_b64 v8, v[10:11], v[12:13] offset0:4 offset1:5
	ds_store_2addr_b64 v28, v[10:11], v[12:13] offset0:2 offset1:3
	v_lshrrev_b64 v[16:17], s14, v[14:15]
	s_not_b32 s20, s13
	s_waitcnt lgkmcnt(0)
	s_barrier
	buffer_gl0_inv
	v_and_b32_e32 v7, s20, v16
	; wave barrier
	v_mov_b32_e32 v41, v42
	v_dual_mov_b32 v39, v44 :: v_dual_mov_b32 v40, v43
	s_delay_alu instid0(VALU_DEP_3)
	v_and_b32_e32 v0, 1, v7
	v_lshlrev_b32_e32 v16, 30, v7
	v_lshlrev_b32_e32 v17, 29, v7
	;; [unrolled: 1-line block ×4, first 2 shown]
	v_add_co_u32 v0, s13, v0, -1
	s_delay_alu instid0(VALU_DEP_1)
	v_cndmask_b32_e64 v19, 0, 1, s13
	v_not_b32_e32 v23, v16
	v_cmp_gt_i32_e64 s13, 0, v16
	v_not_b32_e32 v16, v17
	v_lshlrev_b32_e32 v21, 26, v7
	v_cmp_ne_u32_e32 vcc_lo, 0, v19
	v_ashrrev_i32_e32 v23, 31, v23
	v_lshlrev_b32_e32 v22, 25, v7
	v_ashrrev_i32_e32 v16, 31, v16
	v_lshlrev_b32_e32 v19, 24, v7
	v_xor_b32_e32 v0, vcc_lo, v0
	v_cmp_gt_i32_e32 vcc_lo, 0, v17
	v_not_b32_e32 v17, v18
	v_xor_b32_e32 v23, s13, v23
	v_cmp_gt_i32_e64 s13, 0, v18
	v_and_b32_e32 v0, exec_lo, v0
	v_not_b32_e32 v18, v20
	v_ashrrev_i32_e32 v17, 31, v17
	v_xor_b32_e32 v16, vcc_lo, v16
	v_cmp_gt_i32_e32 vcc_lo, 0, v20
	v_and_b32_e32 v0, v0, v23
	v_not_b32_e32 v20, v21
	v_ashrrev_i32_e32 v18, 31, v18
	v_xor_b32_e32 v17, s13, v17
	v_cmp_gt_i32_e64 s13, 0, v21
	v_and_b32_e32 v0, v0, v16
	v_not_b32_e32 v16, v22
	v_ashrrev_i32_e32 v20, 31, v20
	v_xor_b32_e32 v18, vcc_lo, v18
	v_cmp_gt_i32_e32 vcc_lo, 0, v22
	v_and_b32_e32 v0, v0, v17
	v_not_b32_e32 v17, v19
	v_ashrrev_i32_e32 v16, 31, v16
	v_xor_b32_e32 v20, s13, v20
	v_cmp_gt_i32_e64 s13, 0, v19
	v_and_b32_e32 v0, v0, v18
	v_ashrrev_i32_e32 v17, 31, v17
	v_xor_b32_e32 v16, vcc_lo, v16
	v_dual_mov_b32 v19, v4 :: v_dual_mov_b32 v18, v3
	s_delay_alu instid0(VALU_DEP_4) | instskip(NEXT) | instid1(VALU_DEP_4)
	v_and_b32_e32 v0, v0, v20
	v_xor_b32_e32 v22, s13, v17
	v_dual_mov_b32 v21, v2 :: v_dual_mov_b32 v20, v1
	s_delay_alu instid0(VALU_DEP_3) | instskip(SKIP_2) | instid1(VALU_DEP_3)
	v_dual_mov_b32 v17, v6 :: v_dual_and_b32 v0, v0, v16
	v_mov_b32_e32 v16, v5
	v_lshl_add_u32 v1, v7, 3, v29
	v_and_b32_e32 v0, v0, v22
	s_delay_alu instid0(VALU_DEP_2) | instskip(NEXT) | instid1(VALU_DEP_2)
	v_lshl_add_u32 v23, v1, 2, 32
	v_mbcnt_lo_u32_b32 v22, v0, 0
	v_cmp_ne_u32_e64 s13, 0, v0
	s_delay_alu instid0(VALU_DEP_2) | instskip(NEXT) | instid1(VALU_DEP_2)
	v_cmp_eq_u32_e32 vcc_lo, 0, v22
	s_and_b32 s21, s13, vcc_lo
	s_delay_alu instid0(SALU_CYCLE_1)
	s_and_saveexec_b32 s13, s21
	s_cbranch_execz .LBB0_21
; %bb.20:                               ;   in Loop: Header=BB0_19 Depth=1
	v_bcnt_u32_b32 v0, v0, 0
	ds_store_b32 v23, v0
.LBB0_21:                               ;   in Loop: Header=BB0_19 Depth=1
	s_or_b32 exec_lo, exec_lo, s13
	v_lshrrev_b64 v[0:1], s14, v[20:21]
	; wave barrier
	s_delay_alu instid0(VALU_DEP_1) | instskip(NEXT) | instid1(VALU_DEP_1)
	v_and_b32_e32 v0, s20, v0
	v_and_b32_e32 v1, 1, v0
	v_lshlrev_b32_e32 v2, 30, v0
	v_lshlrev_b32_e32 v3, 29, v0
	;; [unrolled: 1-line block ×4, first 2 shown]
	v_add_co_u32 v1, s13, v1, -1
	s_delay_alu instid0(VALU_DEP_1)
	v_cndmask_b32_e64 v5, 0, 1, s13
	v_not_b32_e32 v43, v2
	v_cmp_gt_i32_e64 s13, 0, v2
	v_not_b32_e32 v2, v3
	v_lshlrev_b32_e32 v7, 26, v0
	v_cmp_ne_u32_e32 vcc_lo, 0, v5
	v_ashrrev_i32_e32 v43, 31, v43
	v_lshlrev_b32_e32 v42, 25, v0
	v_ashrrev_i32_e32 v2, 31, v2
	v_lshlrev_b32_e32 v5, 24, v0
	v_xor_b32_e32 v1, vcc_lo, v1
	v_cmp_gt_i32_e32 vcc_lo, 0, v3
	v_not_b32_e32 v3, v4
	v_xor_b32_e32 v43, s13, v43
	v_cmp_gt_i32_e64 s13, 0, v4
	v_and_b32_e32 v1, exec_lo, v1
	v_not_b32_e32 v4, v6
	v_ashrrev_i32_e32 v3, 31, v3
	v_xor_b32_e32 v2, vcc_lo, v2
	v_cmp_gt_i32_e32 vcc_lo, 0, v6
	v_and_b32_e32 v1, v1, v43
	v_not_b32_e32 v6, v7
	v_ashrrev_i32_e32 v4, 31, v4
	v_xor_b32_e32 v3, s13, v3
	v_cmp_gt_i32_e64 s13, 0, v7
	v_and_b32_e32 v1, v1, v2
	v_not_b32_e32 v2, v42
	v_ashrrev_i32_e32 v6, 31, v6
	v_xor_b32_e32 v4, vcc_lo, v4
	v_cmp_gt_i32_e32 vcc_lo, 0, v42
	v_and_b32_e32 v1, v1, v3
	v_not_b32_e32 v3, v5
	v_ashrrev_i32_e32 v2, 31, v2
	v_xor_b32_e32 v6, s13, v6
	v_lshlrev_b32_e32 v0, 3, v0
	v_and_b32_e32 v1, v1, v4
	v_cmp_gt_i32_e64 s13, 0, v5
	v_ashrrev_i32_e32 v3, 31, v3
	v_xor_b32_e32 v2, vcc_lo, v2
	v_add_lshl_u32 v4, v0, v29, 2
	v_and_b32_e32 v1, v1, v6
	s_delay_alu instid0(VALU_DEP_4) | instskip(SKIP_3) | instid1(VALU_DEP_2)
	v_xor_b32_e32 v0, s13, v3
	ds_load_b32 v42, v4 offset:32
	v_and_b32_e32 v1, v1, v2
	v_add_nc_u32_e32 v44, 32, v4
	; wave barrier
	v_and_b32_e32 v0, v1, v0
	s_delay_alu instid0(VALU_DEP_1) | instskip(SKIP_1) | instid1(VALU_DEP_2)
	v_mbcnt_lo_u32_b32 v43, v0, 0
	v_cmp_ne_u32_e64 s13, 0, v0
	v_cmp_eq_u32_e32 vcc_lo, 0, v43
	s_delay_alu instid0(VALU_DEP_2) | instskip(NEXT) | instid1(SALU_CYCLE_1)
	s_and_b32 s21, s13, vcc_lo
	s_and_saveexec_b32 s13, s21
	s_cbranch_execz .LBB0_23
; %bb.22:                               ;   in Loop: Header=BB0_19 Depth=1
	s_waitcnt lgkmcnt(0)
	v_bcnt_u32_b32 v0, v0, v42
	ds_store_b32 v44, v0
.LBB0_23:                               ;   in Loop: Header=BB0_19 Depth=1
	s_or_b32 exec_lo, exec_lo, s13
	v_lshrrev_b64 v[0:1], s14, v[18:19]
	; wave barrier
	s_delay_alu instid0(VALU_DEP_1) | instskip(NEXT) | instid1(VALU_DEP_1)
	v_and_b32_e32 v0, s20, v0
	v_and_b32_e32 v1, 1, v0
	v_lshlrev_b32_e32 v2, 30, v0
	v_lshlrev_b32_e32 v3, 29, v0
	;; [unrolled: 1-line block ×4, first 2 shown]
	v_add_co_u32 v1, s13, v1, -1
	s_delay_alu instid0(VALU_DEP_1)
	v_cndmask_b32_e64 v5, 0, 1, s13
	v_not_b32_e32 v46, v2
	v_cmp_gt_i32_e64 s13, 0, v2
	v_not_b32_e32 v2, v3
	v_lshlrev_b32_e32 v7, 26, v0
	v_cmp_ne_u32_e32 vcc_lo, 0, v5
	v_ashrrev_i32_e32 v46, 31, v46
	v_lshlrev_b32_e32 v45, 25, v0
	v_ashrrev_i32_e32 v2, 31, v2
	v_lshlrev_b32_e32 v5, 24, v0
	v_xor_b32_e32 v1, vcc_lo, v1
	v_cmp_gt_i32_e32 vcc_lo, 0, v3
	v_not_b32_e32 v3, v4
	v_xor_b32_e32 v46, s13, v46
	v_cmp_gt_i32_e64 s13, 0, v4
	v_and_b32_e32 v1, exec_lo, v1
	v_not_b32_e32 v4, v6
	v_ashrrev_i32_e32 v3, 31, v3
	v_xor_b32_e32 v2, vcc_lo, v2
	v_cmp_gt_i32_e32 vcc_lo, 0, v6
	v_and_b32_e32 v1, v1, v46
	v_not_b32_e32 v6, v7
	v_ashrrev_i32_e32 v4, 31, v4
	v_xor_b32_e32 v3, s13, v3
	v_cmp_gt_i32_e64 s13, 0, v7
	v_and_b32_e32 v1, v1, v2
	v_not_b32_e32 v2, v45
	v_ashrrev_i32_e32 v6, 31, v6
	v_xor_b32_e32 v4, vcc_lo, v4
	v_cmp_gt_i32_e32 vcc_lo, 0, v45
	v_and_b32_e32 v1, v1, v3
	v_not_b32_e32 v3, v5
	v_ashrrev_i32_e32 v2, 31, v2
	v_xor_b32_e32 v6, s13, v6
	v_lshlrev_b32_e32 v0, 3, v0
	v_and_b32_e32 v1, v1, v4
	v_cmp_gt_i32_e64 s13, 0, v5
	v_ashrrev_i32_e32 v3, 31, v3
	v_xor_b32_e32 v2, vcc_lo, v2
	v_add_lshl_u32 v4, v0, v29, 2
	v_and_b32_e32 v1, v1, v6
	s_delay_alu instid0(VALU_DEP_4) | instskip(SKIP_3) | instid1(VALU_DEP_2)
	v_xor_b32_e32 v0, s13, v3
	ds_load_b32 v45, v4 offset:32
	v_and_b32_e32 v1, v1, v2
	v_add_nc_u32_e32 v47, 32, v4
	; wave barrier
	v_and_b32_e32 v0, v1, v0
	s_delay_alu instid0(VALU_DEP_1) | instskip(SKIP_1) | instid1(VALU_DEP_2)
	v_mbcnt_lo_u32_b32 v46, v0, 0
	v_cmp_ne_u32_e64 s13, 0, v0
	v_cmp_eq_u32_e32 vcc_lo, 0, v46
	s_delay_alu instid0(VALU_DEP_2) | instskip(NEXT) | instid1(SALU_CYCLE_1)
	s_and_b32 s21, s13, vcc_lo
	s_and_saveexec_b32 s13, s21
	s_cbranch_execz .LBB0_25
; %bb.24:                               ;   in Loop: Header=BB0_19 Depth=1
	s_waitcnt lgkmcnt(0)
	v_bcnt_u32_b32 v0, v0, v45
	ds_store_b32 v47, v0
.LBB0_25:                               ;   in Loop: Header=BB0_19 Depth=1
	s_or_b32 exec_lo, exec_lo, s13
	v_lshrrev_b64 v[0:1], s14, v[16:17]
	; wave barrier
	s_delay_alu instid0(VALU_DEP_1) | instskip(NEXT) | instid1(VALU_DEP_1)
	v_and_b32_e32 v0, s20, v0
	v_and_b32_e32 v1, 1, v0
	v_lshlrev_b32_e32 v2, 30, v0
	v_lshlrev_b32_e32 v3, 29, v0
	;; [unrolled: 1-line block ×4, first 2 shown]
	v_add_co_u32 v1, s13, v1, -1
	s_delay_alu instid0(VALU_DEP_1)
	v_cndmask_b32_e64 v5, 0, 1, s13
	v_not_b32_e32 v49, v2
	v_cmp_gt_i32_e64 s13, 0, v2
	v_not_b32_e32 v2, v3
	v_lshlrev_b32_e32 v7, 26, v0
	v_cmp_ne_u32_e32 vcc_lo, 0, v5
	v_ashrrev_i32_e32 v49, 31, v49
	v_lshlrev_b32_e32 v48, 25, v0
	v_ashrrev_i32_e32 v2, 31, v2
	v_lshlrev_b32_e32 v5, 24, v0
	v_xor_b32_e32 v1, vcc_lo, v1
	v_cmp_gt_i32_e32 vcc_lo, 0, v3
	v_not_b32_e32 v3, v4
	v_xor_b32_e32 v49, s13, v49
	v_cmp_gt_i32_e64 s13, 0, v4
	v_and_b32_e32 v1, exec_lo, v1
	v_not_b32_e32 v4, v6
	v_ashrrev_i32_e32 v3, 31, v3
	v_xor_b32_e32 v2, vcc_lo, v2
	v_cmp_gt_i32_e32 vcc_lo, 0, v6
	v_and_b32_e32 v1, v1, v49
	v_not_b32_e32 v6, v7
	v_ashrrev_i32_e32 v4, 31, v4
	v_xor_b32_e32 v3, s13, v3
	v_cmp_gt_i32_e64 s13, 0, v7
	v_and_b32_e32 v1, v1, v2
	v_not_b32_e32 v2, v48
	v_ashrrev_i32_e32 v6, 31, v6
	v_xor_b32_e32 v4, vcc_lo, v4
	v_cmp_gt_i32_e32 vcc_lo, 0, v48
	v_and_b32_e32 v1, v1, v3
	v_not_b32_e32 v3, v5
	v_ashrrev_i32_e32 v2, 31, v2
	v_xor_b32_e32 v6, s13, v6
	v_lshlrev_b32_e32 v0, 3, v0
	v_and_b32_e32 v1, v1, v4
	v_cmp_gt_i32_e64 s13, 0, v5
	v_ashrrev_i32_e32 v3, 31, v3
	v_xor_b32_e32 v2, vcc_lo, v2
	v_add_lshl_u32 v4, v0, v29, 2
	v_and_b32_e32 v1, v1, v6
	s_delay_alu instid0(VALU_DEP_4) | instskip(SKIP_3) | instid1(VALU_DEP_2)
	v_xor_b32_e32 v0, s13, v3
	ds_load_b32 v48, v4 offset:32
	v_and_b32_e32 v1, v1, v2
	v_add_nc_u32_e32 v50, 32, v4
	; wave barrier
	v_and_b32_e32 v0, v1, v0
	s_delay_alu instid0(VALU_DEP_1) | instskip(SKIP_1) | instid1(VALU_DEP_2)
	v_mbcnt_lo_u32_b32 v49, v0, 0
	v_cmp_ne_u32_e64 s13, 0, v0
	v_cmp_eq_u32_e32 vcc_lo, 0, v49
	s_delay_alu instid0(VALU_DEP_2) | instskip(NEXT) | instid1(SALU_CYCLE_1)
	s_and_b32 s20, s13, vcc_lo
	s_and_saveexec_b32 s13, s20
	s_cbranch_execz .LBB0_27
; %bb.26:                               ;   in Loop: Header=BB0_19 Depth=1
	s_waitcnt lgkmcnt(0)
	v_bcnt_u32_b32 v0, v0, v48
	ds_store_b32 v50, v0
.LBB0_27:                               ;   in Loop: Header=BB0_19 Depth=1
	s_or_b32 exec_lo, exec_lo, s13
	; wave barrier
	s_waitcnt lgkmcnt(0)
	s_barrier
	buffer_gl0_inv
	ds_load_2addr_b64 v[4:7], v8 offset0:4 offset1:5
	ds_load_2addr_b64 v[0:3], v28 offset0:2 offset1:3
	s_waitcnt lgkmcnt(1)
	v_add_nc_u32_e32 v51, v5, v4
	s_delay_alu instid0(VALU_DEP_1) | instskip(SKIP_1) | instid1(VALU_DEP_1)
	v_add3_u32 v51, v51, v6, v7
	s_waitcnt lgkmcnt(0)
	v_add3_u32 v51, v51, v0, v1
	s_delay_alu instid0(VALU_DEP_1) | instskip(NEXT) | instid1(VALU_DEP_1)
	v_add3_u32 v3, v51, v2, v3
	v_mov_b32_dpp v51, v3 row_shr:1 row_mask:0xf bank_mask:0xf
	s_delay_alu instid0(VALU_DEP_1) | instskip(NEXT) | instid1(VALU_DEP_1)
	v_cndmask_b32_e64 v51, v51, 0, s1
	v_add_nc_u32_e32 v3, v51, v3
	s_delay_alu instid0(VALU_DEP_1) | instskip(NEXT) | instid1(VALU_DEP_1)
	v_mov_b32_dpp v51, v3 row_shr:2 row_mask:0xf bank_mask:0xf
	v_cndmask_b32_e64 v51, 0, v51, s2
	s_delay_alu instid0(VALU_DEP_1) | instskip(NEXT) | instid1(VALU_DEP_1)
	v_add_nc_u32_e32 v3, v3, v51
	v_mov_b32_dpp v51, v3 row_shr:4 row_mask:0xf bank_mask:0xf
	s_delay_alu instid0(VALU_DEP_1) | instskip(NEXT) | instid1(VALU_DEP_1)
	v_cndmask_b32_e64 v51, 0, v51, s3
	v_add_nc_u32_e32 v3, v3, v51
	s_delay_alu instid0(VALU_DEP_1) | instskip(NEXT) | instid1(VALU_DEP_1)
	v_mov_b32_dpp v51, v3 row_shr:8 row_mask:0xf bank_mask:0xf
	v_cndmask_b32_e64 v51, 0, v51, s4
	s_delay_alu instid0(VALU_DEP_1) | instskip(SKIP_3) | instid1(VALU_DEP_1)
	v_add_nc_u32_e32 v3, v3, v51
	ds_swizzle_b32 v51, v3 offset:swizzle(BROADCAST,32,15)
	s_waitcnt lgkmcnt(0)
	v_cndmask_b32_e64 v51, v51, 0, s5
	v_add_nc_u32_e32 v3, v3, v51
	s_and_saveexec_b32 s13, s6
	s_cbranch_execz .LBB0_29
; %bb.28:                               ;   in Loop: Header=BB0_19 Depth=1
	ds_store_b32 v31, v3
.LBB0_29:                               ;   in Loop: Header=BB0_19 Depth=1
	s_or_b32 exec_lo, exec_lo, s13
	s_waitcnt lgkmcnt(0)
	s_barrier
	buffer_gl0_inv
	s_and_saveexec_b32 s13, s0
	s_cbranch_execz .LBB0_31
; %bb.30:                               ;   in Loop: Header=BB0_19 Depth=1
	ds_load_b32 v51, v37
	s_waitcnt lgkmcnt(0)
	v_mov_b32_dpp v52, v51 row_shr:1 row_mask:0xf bank_mask:0xf
	s_delay_alu instid0(VALU_DEP_1) | instskip(NEXT) | instid1(VALU_DEP_1)
	v_cndmask_b32_e64 v52, v52, 0, s10
	v_add_nc_u32_e32 v51, v52, v51
	s_delay_alu instid0(VALU_DEP_1) | instskip(NEXT) | instid1(VALU_DEP_1)
	v_mov_b32_dpp v52, v51 row_shr:2 row_mask:0xf bank_mask:0xf
	v_cndmask_b32_e64 v52, 0, v52, s11
	s_delay_alu instid0(VALU_DEP_1) | instskip(NEXT) | instid1(VALU_DEP_1)
	v_add_nc_u32_e32 v51, v51, v52
	v_mov_b32_dpp v52, v51 row_shr:4 row_mask:0xf bank_mask:0xf
	s_delay_alu instid0(VALU_DEP_1) | instskip(NEXT) | instid1(VALU_DEP_1)
	v_cndmask_b32_e64 v52, 0, v52, s12
	v_add_nc_u32_e32 v51, v51, v52
	ds_store_b32 v37, v51
.LBB0_31:                               ;   in Loop: Header=BB0_19 Depth=1
	s_or_b32 exec_lo, exec_lo, s13
	v_mov_b32_e32 v51, 0
	s_waitcnt lgkmcnt(0)
	s_barrier
	buffer_gl0_inv
	s_and_saveexec_b32 s13, s7
	s_cbranch_execz .LBB0_33
; %bb.32:                               ;   in Loop: Header=BB0_19 Depth=1
	ds_load_b32 v51, v32
.LBB0_33:                               ;   in Loop: Header=BB0_19 Depth=1
	s_or_b32 exec_lo, exec_lo, s13
	s_waitcnt lgkmcnt(0)
	v_add_nc_u32_e32 v3, v51, v3
	s_add_i32 s14, s14, 8
	s_delay_alu instid0(SALU_CYCLE_1) | instskip(SKIP_3) | instid1(VALU_DEP_1)
	s_cmp_ge_u32 s14, s17
	ds_bpermute_b32 v3, v30, v3
	s_waitcnt lgkmcnt(0)
	v_cndmask_b32_e64 v3, v3, v51, s8
	v_cndmask_b32_e64 v3, v3, 0, s9
	s_delay_alu instid0(VALU_DEP_1) | instskip(NEXT) | instid1(VALU_DEP_1)
	v_add_nc_u32_e32 v4, v3, v4
	v_add_nc_u32_e32 v5, v4, v5
	s_delay_alu instid0(VALU_DEP_1) | instskip(NEXT) | instid1(VALU_DEP_1)
	v_add_nc_u32_e32 v6, v5, v6
	v_add_nc_u32_e32 v51, v6, v7
	;; [unrolled: 3-line block ×3, first 2 shown]
	s_delay_alu instid0(VALU_DEP_1)
	v_add_nc_u32_e32 v1, v0, v2
	ds_store_2addr_b64 v8, v[3:4], v[5:6] offset0:4 offset1:5
	ds_store_2addr_b64 v28, v[51:52], v[0:1] offset0:2 offset1:3
	s_waitcnt lgkmcnt(0)
	s_barrier
	buffer_gl0_inv
	ds_load_b32 v0, v23
	ds_load_b32 v1, v44
	;; [unrolled: 1-line block ×4, first 2 shown]
	s_waitcnt lgkmcnt(0)
	v_add_nc_u32_e32 v0, v0, v22
	v_add3_u32 v7, v43, v42, v1
	v_add3_u32 v46, v46, v45, v2
	;; [unrolled: 1-line block ×3, first 2 shown]
	s_delay_alu instid0(VALU_DEP_4) | instskip(NEXT) | instid1(VALU_DEP_4)
	v_lshlrev_b32_e32 v49, 3, v0
	v_lshlrev_b32_e32 v50, 3, v7
	s_delay_alu instid0(VALU_DEP_4) | instskip(NEXT) | instid1(VALU_DEP_4)
	v_lshlrev_b32_e32 v51, 3, v46
	v_lshlrev_b32_e32 v48, 3, v47
	s_cbranch_scc0 .LBB0_18
; %bb.34:
                                        ; implicit-def: $vgpr5_vgpr6
                                        ; implicit-def: $vgpr3_vgpr4
                                        ; implicit-def: $vgpr1_vgpr2
                                        ; implicit-def: $vgpr22_vgpr23
                                        ; implicit-def: $sgpr14
                                        ; implicit-def: $vgpr42
                                        ; implicit-def: $vgpr43
                                        ; implicit-def: $vgpr44
                                        ; implicit-def: $vgpr45
.LBB0_35:
	v_lshlrev_b32_e32 v5, 3, v9
	s_barrier
	buffer_gl0_inv
	ds_store_b64 v49, v[14:15]
	ds_store_b64 v50, v[20:21]
	;; [unrolled: 1-line block ×4, first 2 shown]
	s_waitcnt lgkmcnt(0)
	s_barrier
	buffer_gl0_inv
	ds_load_2addr_stride64_b64 v[1:4], v5 offset1:4
	ds_load_2addr_stride64_b64 v[15:18], v5 offset0:8 offset1:12
	s_waitcnt lgkmcnt(0)
	s_barrier
	buffer_gl0_inv
	ds_store_b8 v0, v41
	ds_store_b8 v7, v40
	;; [unrolled: 1-line block ×4, first 2 shown]
	s_waitcnt lgkmcnt(0)
	s_barrier
	buffer_gl0_inv
	ds_load_u8 v14, v9
	ds_load_u8 v13, v9 offset:256
	ds_load_u8 v12, v9 offset:512
	;; [unrolled: 1-line block ×3, first 2 shown]
	s_add_u32 s0, s18, s26
	s_addc_u32 s1, s19, s27
	s_and_not1_b32 vcc_lo, exec_lo, s28
	s_mov_b32 s3, 0
	v_xor_b32_e32 v7, 0x7fffffff, v4
	v_add_co_u32 v4, s0, s0, v5
	v_xor_b32_e32 v11, 0x7fffffff, v2
	v_xor_b32_e32 v10, -1, v1
	v_xor_b32_e32 v6, -1, v3
	v_xor_b32_e32 v1, 0x7fffffff, v16
	v_xor_b32_e32 v0, -1, v15
	v_xor_b32_e32 v3, 0x7fffffff, v18
	v_xor_b32_e32 v2, -1, v17
	v_add_co_ci_u32_e64 v5, null, s1, 0, s0
	s_mov_b32 s0, -1
	s_cbranch_vccz .LBB0_39
; %bb.36:
	s_and_not1_b32 vcc_lo, exec_lo, s0
	s_cbranch_vccz .LBB0_40
.LBB0_37:
	s_and_saveexec_b32 s0, s3
	s_cbranch_execnz .LBB0_53
.LBB0_38:
	s_nop 0
	s_sendmsg sendmsg(MSG_DEALLOC_VGPRS)
	s_endpgm
.LBB0_39:
	s_add_u32 s1, s22, s24
	s_addc_u32 s2, s23, 0
	v_add_co_u32 v17, s1, s1, v9
	v_add_co_u32 v15, vcc_lo, 0x1000, v4
	v_add_co_ci_u32_e64 v18, null, s2, 0, s1
	v_add_co_ci_u32_e32 v16, vcc_lo, 0, v5, vcc_lo
	s_mov_b32 s3, -1
	s_clause 0x3
	global_store_b64 v[4:5], v[10:11], off
	global_store_b64 v[4:5], v[6:7], off offset:2048
	global_store_b64 v[15:16], v[0:1], off
	global_store_b64 v[15:16], v[2:3], off offset:2048
	s_waitcnt lgkmcnt(3)
	global_store_b8 v[17:18], v14, off
	s_waitcnt lgkmcnt(2)
	global_store_b8 v[17:18], v13, off offset:256
	s_waitcnt lgkmcnt(1)
	global_store_b8 v[17:18], v12, off offset:512
	s_cbranch_execnz .LBB0_37
.LBB0_40:
	v_cmp_gt_u32_e32 vcc_lo, s16, v9
	s_and_saveexec_b32 s0, vcc_lo
	s_cbranch_execz .LBB0_42
; %bb.41:
	global_store_b64 v[4:5], v[10:11], off
.LBB0_42:
	s_or_b32 exec_lo, exec_lo, s0
	v_add_nc_u32_e32 v10, 0x100, v9
	s_delay_alu instid0(VALU_DEP_1) | instskip(NEXT) | instid1(VALU_DEP_1)
	v_cmp_gt_u32_e64 s0, s16, v10
	s_and_saveexec_b32 s1, s0
	s_cbranch_execz .LBB0_44
; %bb.43:
	global_store_b64 v[4:5], v[6:7], off offset:2048
.LBB0_44:
	s_or_b32 exec_lo, exec_lo, s1
	v_add_nc_u32_e32 v6, 0x200, v9
	s_delay_alu instid0(VALU_DEP_1) | instskip(NEXT) | instid1(VALU_DEP_1)
	v_cmp_gt_u32_e64 s1, s16, v6
	s_and_saveexec_b32 s3, s1
	s_cbranch_execz .LBB0_46
; %bb.45:
	v_add_co_u32 v6, s2, 0x1000, v4
	s_delay_alu instid0(VALU_DEP_1)
	v_add_co_ci_u32_e64 v7, s2, 0, v5, s2
	global_store_b64 v[6:7], v[0:1], off
.LBB0_46:
	s_or_b32 exec_lo, exec_lo, s3
	v_add_nc_u32_e32 v0, 0x300, v9
	s_delay_alu instid0(VALU_DEP_1) | instskip(NEXT) | instid1(VALU_DEP_1)
	v_cmp_gt_u32_e64 s3, s16, v0
	s_and_saveexec_b32 s4, s3
	s_cbranch_execz .LBB0_48
; %bb.47:
	v_add_co_u32 v0, s2, 0x1000, v4
	s_delay_alu instid0(VALU_DEP_1)
	v_add_co_ci_u32_e64 v1, s2, 0, v5, s2
	global_store_b64 v[0:1], v[2:3], off offset:2048
.LBB0_48:
	s_or_b32 exec_lo, exec_lo, s4
	s_add_u32 s2, s22, s24
	s_addc_u32 s4, s23, 0
	v_add_co_u32 v0, s2, s2, v9
	s_delay_alu instid0(VALU_DEP_1)
	v_add_co_ci_u32_e64 v1, null, s4, 0, s2
	s_and_saveexec_b32 s2, vcc_lo
	s_cbranch_execnz .LBB0_57
; %bb.49:
	s_or_b32 exec_lo, exec_lo, s2
	s_and_saveexec_b32 s2, s0
	s_cbranch_execnz .LBB0_58
.LBB0_50:
	s_or_b32 exec_lo, exec_lo, s2
	s_and_saveexec_b32 s0, s1
	s_cbranch_execz .LBB0_52
.LBB0_51:
	s_waitcnt lgkmcnt(1)
	global_store_b8 v[0:1], v12, off offset:512
.LBB0_52:
	s_or_b32 exec_lo, exec_lo, s0
	s_and_saveexec_b32 s0, s3
	s_cbranch_execz .LBB0_38
.LBB0_53:
	s_add_u32 s0, s22, s24
	s_addc_u32 s1, s23, 0
	v_add_co_u32 v0, s0, s0, v9
	s_delay_alu instid0(VALU_DEP_1)
	v_add_co_ci_u32_e64 v1, null, s1, 0, s0
	s_waitcnt lgkmcnt(0)
	global_store_b8 v[0:1], v8, off offset:768
	s_nop 0
	s_sendmsg sendmsg(MSG_DEALLOC_VGPRS)
	s_endpgm
.LBB0_54:
	global_load_u8 v42, v[10:11], off
	s_or_b32 exec_lo, exec_lo, s5
                                        ; implicit-def: $vgpr43
	s_and_saveexec_b32 s5, s2
	s_cbranch_execz .LBB0_13
.LBB0_55:
	global_load_u8 v43, v[10:11], off offset:32
	s_or_b32 exec_lo, exec_lo, s5
                                        ; implicit-def: $vgpr44
	s_and_saveexec_b32 s2, s3
	s_cbranch_execz .LBB0_14
.LBB0_56:
	global_load_u8 v44, v[10:11], off offset:64
	s_or_b32 exec_lo, exec_lo, s2
                                        ; implicit-def: $vgpr45
	s_and_saveexec_b32 s2, s4
	s_cbranch_execnz .LBB0_15
	s_branch .LBB0_16
.LBB0_57:
	s_waitcnt lgkmcnt(3)
	global_store_b8 v[0:1], v14, off
	s_or_b32 exec_lo, exec_lo, s2
	s_and_saveexec_b32 s2, s0
	s_cbranch_execz .LBB0_50
.LBB0_58:
	s_waitcnt lgkmcnt(2)
	global_store_b8 v[0:1], v13, off offset:256
	s_or_b32 exec_lo, exec_lo, s2
	s_and_saveexec_b32 s0, s1
	s_cbranch_execnz .LBB0_51
	s_branch .LBB0_52
	.section	.rodata,"a",@progbits
	.p2align	6, 0x0
	.amdhsa_kernel _ZN7rocprim17ROCPRIM_304000_NS6detail28radix_sort_block_sort_kernelINS1_36wrapped_radix_sort_block_sort_configINS0_13kernel_configILj256ELj4ELj4294967295EEElN2at4cuda3cub6detail10OpaqueTypeILi1EEEEELb1EPKlPlPKSB_PSB_NS0_19identity_decomposerEEEvT1_T2_T3_T4_jT5_jj
		.amdhsa_group_segment_fixed_size 8224
		.amdhsa_private_segment_fixed_size 0
		.amdhsa_kernarg_size 304
		.amdhsa_user_sgpr_count 15
		.amdhsa_user_sgpr_dispatch_ptr 0
		.amdhsa_user_sgpr_queue_ptr 0
		.amdhsa_user_sgpr_kernarg_segment_ptr 1
		.amdhsa_user_sgpr_dispatch_id 0
		.amdhsa_user_sgpr_private_segment_size 0
		.amdhsa_wavefront_size32 1
		.amdhsa_uses_dynamic_stack 0
		.amdhsa_enable_private_segment 0
		.amdhsa_system_sgpr_workgroup_id_x 1
		.amdhsa_system_sgpr_workgroup_id_y 0
		.amdhsa_system_sgpr_workgroup_id_z 0
		.amdhsa_system_sgpr_workgroup_info 0
		.amdhsa_system_vgpr_workitem_id 2
		.amdhsa_next_free_vgpr 53
		.amdhsa_next_free_sgpr 32
		.amdhsa_reserve_vcc 1
		.amdhsa_float_round_mode_32 0
		.amdhsa_float_round_mode_16_64 0
		.amdhsa_float_denorm_mode_32 3
		.amdhsa_float_denorm_mode_16_64 3
		.amdhsa_dx10_clamp 1
		.amdhsa_ieee_mode 1
		.amdhsa_fp16_overflow 0
		.amdhsa_workgroup_processor_mode 1
		.amdhsa_memory_ordered 1
		.amdhsa_forward_progress 0
		.amdhsa_shared_vgpr_count 0
		.amdhsa_exception_fp_ieee_invalid_op 0
		.amdhsa_exception_fp_denorm_src 0
		.amdhsa_exception_fp_ieee_div_zero 0
		.amdhsa_exception_fp_ieee_overflow 0
		.amdhsa_exception_fp_ieee_underflow 0
		.amdhsa_exception_fp_ieee_inexact 0
		.amdhsa_exception_int_div_zero 0
	.end_amdhsa_kernel
	.section	.text._ZN7rocprim17ROCPRIM_304000_NS6detail28radix_sort_block_sort_kernelINS1_36wrapped_radix_sort_block_sort_configINS0_13kernel_configILj256ELj4ELj4294967295EEElN2at4cuda3cub6detail10OpaqueTypeILi1EEEEELb1EPKlPlPKSB_PSB_NS0_19identity_decomposerEEEvT1_T2_T3_T4_jT5_jj,"axG",@progbits,_ZN7rocprim17ROCPRIM_304000_NS6detail28radix_sort_block_sort_kernelINS1_36wrapped_radix_sort_block_sort_configINS0_13kernel_configILj256ELj4ELj4294967295EEElN2at4cuda3cub6detail10OpaqueTypeILi1EEEEELb1EPKlPlPKSB_PSB_NS0_19identity_decomposerEEEvT1_T2_T3_T4_jT5_jj,comdat
.Lfunc_end0:
	.size	_ZN7rocprim17ROCPRIM_304000_NS6detail28radix_sort_block_sort_kernelINS1_36wrapped_radix_sort_block_sort_configINS0_13kernel_configILj256ELj4ELj4294967295EEElN2at4cuda3cub6detail10OpaqueTypeILi1EEEEELb1EPKlPlPKSB_PSB_NS0_19identity_decomposerEEEvT1_T2_T3_T4_jT5_jj, .Lfunc_end0-_ZN7rocprim17ROCPRIM_304000_NS6detail28radix_sort_block_sort_kernelINS1_36wrapped_radix_sort_block_sort_configINS0_13kernel_configILj256ELj4ELj4294967295EEElN2at4cuda3cub6detail10OpaqueTypeILi1EEEEELb1EPKlPlPKSB_PSB_NS0_19identity_decomposerEEEvT1_T2_T3_T4_jT5_jj
                                        ; -- End function
	.section	.AMDGPU.csdata,"",@progbits
; Kernel info:
; codeLenInByte = 4104
; NumSgprs: 34
; NumVgprs: 53
; ScratchSize: 0
; MemoryBound: 1
; FloatMode: 240
; IeeeMode: 1
; LDSByteSize: 8224 bytes/workgroup (compile time only)
; SGPRBlocks: 4
; VGPRBlocks: 6
; NumSGPRsForWavesPerEU: 34
; NumVGPRsForWavesPerEU: 53
; Occupancy: 16
; WaveLimiterHint : 1
; COMPUTE_PGM_RSRC2:SCRATCH_EN: 0
; COMPUTE_PGM_RSRC2:USER_SGPR: 15
; COMPUTE_PGM_RSRC2:TRAP_HANDLER: 0
; COMPUTE_PGM_RSRC2:TGID_X_EN: 1
; COMPUTE_PGM_RSRC2:TGID_Y_EN: 0
; COMPUTE_PGM_RSRC2:TGID_Z_EN: 0
; COMPUTE_PGM_RSRC2:TIDIG_COMP_CNT: 2
	.section	.text._ZN7rocprim17ROCPRIM_304000_NS6detail39device_merge_sort_compile_time_verifierINS1_36wrapped_merge_sort_block_sort_configINS1_28merge_sort_block_sort_configILj256ELj4ELNS0_20block_sort_algorithmE0EEElN2at4cuda3cub6detail10OpaqueTypeILi1EEEEENS1_37wrapped_merge_sort_block_merge_configINS0_14default_configElSC_EEEEvv,"axG",@progbits,_ZN7rocprim17ROCPRIM_304000_NS6detail39device_merge_sort_compile_time_verifierINS1_36wrapped_merge_sort_block_sort_configINS1_28merge_sort_block_sort_configILj256ELj4ELNS0_20block_sort_algorithmE0EEElN2at4cuda3cub6detail10OpaqueTypeILi1EEEEENS1_37wrapped_merge_sort_block_merge_configINS0_14default_configElSC_EEEEvv,comdat
	.protected	_ZN7rocprim17ROCPRIM_304000_NS6detail39device_merge_sort_compile_time_verifierINS1_36wrapped_merge_sort_block_sort_configINS1_28merge_sort_block_sort_configILj256ELj4ELNS0_20block_sort_algorithmE0EEElN2at4cuda3cub6detail10OpaqueTypeILi1EEEEENS1_37wrapped_merge_sort_block_merge_configINS0_14default_configElSC_EEEEvv ; -- Begin function _ZN7rocprim17ROCPRIM_304000_NS6detail39device_merge_sort_compile_time_verifierINS1_36wrapped_merge_sort_block_sort_configINS1_28merge_sort_block_sort_configILj256ELj4ELNS0_20block_sort_algorithmE0EEElN2at4cuda3cub6detail10OpaqueTypeILi1EEEEENS1_37wrapped_merge_sort_block_merge_configINS0_14default_configElSC_EEEEvv
	.globl	_ZN7rocprim17ROCPRIM_304000_NS6detail39device_merge_sort_compile_time_verifierINS1_36wrapped_merge_sort_block_sort_configINS1_28merge_sort_block_sort_configILj256ELj4ELNS0_20block_sort_algorithmE0EEElN2at4cuda3cub6detail10OpaqueTypeILi1EEEEENS1_37wrapped_merge_sort_block_merge_configINS0_14default_configElSC_EEEEvv
	.p2align	8
	.type	_ZN7rocprim17ROCPRIM_304000_NS6detail39device_merge_sort_compile_time_verifierINS1_36wrapped_merge_sort_block_sort_configINS1_28merge_sort_block_sort_configILj256ELj4ELNS0_20block_sort_algorithmE0EEElN2at4cuda3cub6detail10OpaqueTypeILi1EEEEENS1_37wrapped_merge_sort_block_merge_configINS0_14default_configElSC_EEEEvv,@function
_ZN7rocprim17ROCPRIM_304000_NS6detail39device_merge_sort_compile_time_verifierINS1_36wrapped_merge_sort_block_sort_configINS1_28merge_sort_block_sort_configILj256ELj4ELNS0_20block_sort_algorithmE0EEElN2at4cuda3cub6detail10OpaqueTypeILi1EEEEENS1_37wrapped_merge_sort_block_merge_configINS0_14default_configElSC_EEEEvv: ; @_ZN7rocprim17ROCPRIM_304000_NS6detail39device_merge_sort_compile_time_verifierINS1_36wrapped_merge_sort_block_sort_configINS1_28merge_sort_block_sort_configILj256ELj4ELNS0_20block_sort_algorithmE0EEElN2at4cuda3cub6detail10OpaqueTypeILi1EEEEENS1_37wrapped_merge_sort_block_merge_configINS0_14default_configElSC_EEEEvv
; %bb.0:
	s_endpgm
	.section	.rodata,"a",@progbits
	.p2align	6, 0x0
	.amdhsa_kernel _ZN7rocprim17ROCPRIM_304000_NS6detail39device_merge_sort_compile_time_verifierINS1_36wrapped_merge_sort_block_sort_configINS1_28merge_sort_block_sort_configILj256ELj4ELNS0_20block_sort_algorithmE0EEElN2at4cuda3cub6detail10OpaqueTypeILi1EEEEENS1_37wrapped_merge_sort_block_merge_configINS0_14default_configElSC_EEEEvv
		.amdhsa_group_segment_fixed_size 0
		.amdhsa_private_segment_fixed_size 0
		.amdhsa_kernarg_size 0
		.amdhsa_user_sgpr_count 15
		.amdhsa_user_sgpr_dispatch_ptr 0
		.amdhsa_user_sgpr_queue_ptr 0
		.amdhsa_user_sgpr_kernarg_segment_ptr 0
		.amdhsa_user_sgpr_dispatch_id 0
		.amdhsa_user_sgpr_private_segment_size 0
		.amdhsa_wavefront_size32 1
		.amdhsa_uses_dynamic_stack 0
		.amdhsa_enable_private_segment 0
		.amdhsa_system_sgpr_workgroup_id_x 1
		.amdhsa_system_sgpr_workgroup_id_y 0
		.amdhsa_system_sgpr_workgroup_id_z 0
		.amdhsa_system_sgpr_workgroup_info 0
		.amdhsa_system_vgpr_workitem_id 0
		.amdhsa_next_free_vgpr 1
		.amdhsa_next_free_sgpr 1
		.amdhsa_reserve_vcc 0
		.amdhsa_float_round_mode_32 0
		.amdhsa_float_round_mode_16_64 0
		.amdhsa_float_denorm_mode_32 3
		.amdhsa_float_denorm_mode_16_64 3
		.amdhsa_dx10_clamp 1
		.amdhsa_ieee_mode 1
		.amdhsa_fp16_overflow 0
		.amdhsa_workgroup_processor_mode 1
		.amdhsa_memory_ordered 1
		.amdhsa_forward_progress 0
		.amdhsa_shared_vgpr_count 0
		.amdhsa_exception_fp_ieee_invalid_op 0
		.amdhsa_exception_fp_denorm_src 0
		.amdhsa_exception_fp_ieee_div_zero 0
		.amdhsa_exception_fp_ieee_overflow 0
		.amdhsa_exception_fp_ieee_underflow 0
		.amdhsa_exception_fp_ieee_inexact 0
		.amdhsa_exception_int_div_zero 0
	.end_amdhsa_kernel
	.section	.text._ZN7rocprim17ROCPRIM_304000_NS6detail39device_merge_sort_compile_time_verifierINS1_36wrapped_merge_sort_block_sort_configINS1_28merge_sort_block_sort_configILj256ELj4ELNS0_20block_sort_algorithmE0EEElN2at4cuda3cub6detail10OpaqueTypeILi1EEEEENS1_37wrapped_merge_sort_block_merge_configINS0_14default_configElSC_EEEEvv,"axG",@progbits,_ZN7rocprim17ROCPRIM_304000_NS6detail39device_merge_sort_compile_time_verifierINS1_36wrapped_merge_sort_block_sort_configINS1_28merge_sort_block_sort_configILj256ELj4ELNS0_20block_sort_algorithmE0EEElN2at4cuda3cub6detail10OpaqueTypeILi1EEEEENS1_37wrapped_merge_sort_block_merge_configINS0_14default_configElSC_EEEEvv,comdat
.Lfunc_end1:
	.size	_ZN7rocprim17ROCPRIM_304000_NS6detail39device_merge_sort_compile_time_verifierINS1_36wrapped_merge_sort_block_sort_configINS1_28merge_sort_block_sort_configILj256ELj4ELNS0_20block_sort_algorithmE0EEElN2at4cuda3cub6detail10OpaqueTypeILi1EEEEENS1_37wrapped_merge_sort_block_merge_configINS0_14default_configElSC_EEEEvv, .Lfunc_end1-_ZN7rocprim17ROCPRIM_304000_NS6detail39device_merge_sort_compile_time_verifierINS1_36wrapped_merge_sort_block_sort_configINS1_28merge_sort_block_sort_configILj256ELj4ELNS0_20block_sort_algorithmE0EEElN2at4cuda3cub6detail10OpaqueTypeILi1EEEEENS1_37wrapped_merge_sort_block_merge_configINS0_14default_configElSC_EEEEvv
                                        ; -- End function
	.section	.AMDGPU.csdata,"",@progbits
; Kernel info:
; codeLenInByte = 4
; NumSgprs: 0
; NumVgprs: 0
; ScratchSize: 0
; MemoryBound: 0
; FloatMode: 240
; IeeeMode: 1
; LDSByteSize: 0 bytes/workgroup (compile time only)
; SGPRBlocks: 0
; VGPRBlocks: 0
; NumSGPRsForWavesPerEU: 1
; NumVGPRsForWavesPerEU: 1
; Occupancy: 16
; WaveLimiterHint : 0
; COMPUTE_PGM_RSRC2:SCRATCH_EN: 0
; COMPUTE_PGM_RSRC2:USER_SGPR: 15
; COMPUTE_PGM_RSRC2:TRAP_HANDLER: 0
; COMPUTE_PGM_RSRC2:TGID_X_EN: 1
; COMPUTE_PGM_RSRC2:TGID_Y_EN: 0
; COMPUTE_PGM_RSRC2:TGID_Z_EN: 0
; COMPUTE_PGM_RSRC2:TIDIG_COMP_CNT: 0
	.section	.text._ZN7rocprim17ROCPRIM_304000_NS6detail45device_block_merge_mergepath_partition_kernelINS1_37wrapped_merge_sort_block_merge_configINS0_14default_configElN2at4cuda3cub6detail10OpaqueTypeILi1EEEEEPljNS1_19radix_merge_compareILb1ELb0ElNS0_19identity_decomposerEEEEEvT0_T1_jPSH_T2_SH_,"axG",@progbits,_ZN7rocprim17ROCPRIM_304000_NS6detail45device_block_merge_mergepath_partition_kernelINS1_37wrapped_merge_sort_block_merge_configINS0_14default_configElN2at4cuda3cub6detail10OpaqueTypeILi1EEEEEPljNS1_19radix_merge_compareILb1ELb0ElNS0_19identity_decomposerEEEEEvT0_T1_jPSH_T2_SH_,comdat
	.protected	_ZN7rocprim17ROCPRIM_304000_NS6detail45device_block_merge_mergepath_partition_kernelINS1_37wrapped_merge_sort_block_merge_configINS0_14default_configElN2at4cuda3cub6detail10OpaqueTypeILi1EEEEEPljNS1_19radix_merge_compareILb1ELb0ElNS0_19identity_decomposerEEEEEvT0_T1_jPSH_T2_SH_ ; -- Begin function _ZN7rocprim17ROCPRIM_304000_NS6detail45device_block_merge_mergepath_partition_kernelINS1_37wrapped_merge_sort_block_merge_configINS0_14default_configElN2at4cuda3cub6detail10OpaqueTypeILi1EEEEEPljNS1_19radix_merge_compareILb1ELb0ElNS0_19identity_decomposerEEEEEvT0_T1_jPSH_T2_SH_
	.globl	_ZN7rocprim17ROCPRIM_304000_NS6detail45device_block_merge_mergepath_partition_kernelINS1_37wrapped_merge_sort_block_merge_configINS0_14default_configElN2at4cuda3cub6detail10OpaqueTypeILi1EEEEEPljNS1_19radix_merge_compareILb1ELb0ElNS0_19identity_decomposerEEEEEvT0_T1_jPSH_T2_SH_
	.p2align	8
	.type	_ZN7rocprim17ROCPRIM_304000_NS6detail45device_block_merge_mergepath_partition_kernelINS1_37wrapped_merge_sort_block_merge_configINS0_14default_configElN2at4cuda3cub6detail10OpaqueTypeILi1EEEEEPljNS1_19radix_merge_compareILb1ELb0ElNS0_19identity_decomposerEEEEEvT0_T1_jPSH_T2_SH_,@function
_ZN7rocprim17ROCPRIM_304000_NS6detail45device_block_merge_mergepath_partition_kernelINS1_37wrapped_merge_sort_block_merge_configINS0_14default_configElN2at4cuda3cub6detail10OpaqueTypeILi1EEEEEPljNS1_19radix_merge_compareILb1ELb0ElNS0_19identity_decomposerEEEEEvT0_T1_jPSH_T2_SH_: ; @_ZN7rocprim17ROCPRIM_304000_NS6detail45device_block_merge_mergepath_partition_kernelINS1_37wrapped_merge_sort_block_merge_configINS0_14default_configElN2at4cuda3cub6detail10OpaqueTypeILi1EEEEEPljNS1_19radix_merge_compareILb1ELb0ElNS0_19identity_decomposerEEEEEvT0_T1_jPSH_T2_SH_
; %bb.0:
	s_load_b64 s[2:3], s[0:1], 0x8
	v_lshl_or_b32 v0, s15, 7, v0
	s_waitcnt lgkmcnt(0)
	s_delay_alu instid0(VALU_DEP_1)
	v_cmp_gt_u32_e32 vcc_lo, s3, v0
	s_and_saveexec_b32 s3, vcc_lo
	s_cbranch_execz .LBB2_6
; %bb.1:
	s_load_b32 s3, s[0:1], 0x1c
	s_waitcnt lgkmcnt(0)
	s_lshr_b32 s4, s3, 9
	s_delay_alu instid0(SALU_CYCLE_1) | instskip(NEXT) | instid1(SALU_CYCLE_1)
	s_and_b32 s4, s4, 0x7ffffe
	s_sub_i32 s5, 0, s4
	s_add_i32 s4, s4, -1
	v_and_b32_e32 v1, s5, v0
	v_and_b32_e32 v5, s4, v0
	s_delay_alu instid0(VALU_DEP_2) | instskip(NEXT) | instid1(VALU_DEP_1)
	v_lshlrev_b32_e32 v1, 10, v1
	v_add_nc_u32_e32 v2, s3, v1
	s_delay_alu instid0(VALU_DEP_1) | instskip(SKIP_1) | instid1(VALU_DEP_2)
	v_min_u32_e32 v4, s2, v2
	v_min_u32_e32 v2, s2, v1
	v_add_nc_u32_e32 v3, s3, v4
	s_delay_alu instid0(VALU_DEP_1) | instskip(SKIP_2) | instid1(VALU_DEP_2)
	v_min_u32_e32 v1, s2, v3
	v_lshlrev_b32_e32 v3, 10, v5
	s_mov_b32 s2, exec_lo
	v_sub_nc_u32_e32 v5, v1, v2
	v_sub_nc_u32_e32 v6, v1, v4
	s_delay_alu instid0(VALU_DEP_2) | instskip(SKIP_1) | instid1(VALU_DEP_2)
	v_min_u32_e32 v1, v5, v3
	v_sub_nc_u32_e32 v3, v4, v2
	v_sub_nc_u32_e64 v6, v1, v6 clamp
	s_delay_alu instid0(VALU_DEP_2) | instskip(NEXT) | instid1(VALU_DEP_1)
	v_min_u32_e32 v7, v1, v3
	v_cmpx_lt_u32_e64 v6, v7
	s_cbranch_execz .LBB2_5
; %bb.2:
	s_load_b64 s[4:5], s[0:1], 0x0
	v_mov_b32_e32 v5, 0
	s_mov_b32 s3, 0
	s_delay_alu instid0(VALU_DEP_1) | instskip(SKIP_1) | instid1(VALU_DEP_2)
	v_mov_b32_e32 v3, v5
	v_lshlrev_b64 v[10:11], 3, v[4:5]
	v_lshlrev_b64 v[8:9], 3, v[2:3]
	s_waitcnt lgkmcnt(0)
	s_delay_alu instid0(VALU_DEP_1) | instskip(NEXT) | instid1(VALU_DEP_2)
	v_add_co_u32 v3, vcc_lo, s4, v8
	v_add_co_ci_u32_e32 v8, vcc_lo, s5, v9, vcc_lo
	s_delay_alu instid0(VALU_DEP_4)
	v_add_co_u32 v9, vcc_lo, s4, v10
	v_add_co_ci_u32_e32 v10, vcc_lo, s5, v11, vcc_lo
	.p2align	6
.LBB2_3:                                ; =>This Inner Loop Header: Depth=1
	v_add_nc_u32_e32 v4, v7, v6
	s_delay_alu instid0(VALU_DEP_1) | instskip(SKIP_1) | instid1(VALU_DEP_2)
	v_lshrrev_b32_e32 v4, 1, v4
	v_mov_b32_e32 v12, v5
	v_xad_u32 v11, v4, -1, v1
	v_lshlrev_b64 v[13:14], 3, v[4:5]
	s_delay_alu instid0(VALU_DEP_2) | instskip(NEXT) | instid1(VALU_DEP_2)
	v_lshlrev_b64 v[11:12], 3, v[11:12]
	v_add_co_u32 v13, vcc_lo, v3, v13
	s_delay_alu instid0(VALU_DEP_3) | instskip(NEXT) | instid1(VALU_DEP_3)
	v_add_co_ci_u32_e32 v14, vcc_lo, v8, v14, vcc_lo
	v_add_co_u32 v11, vcc_lo, v9, v11
	s_delay_alu instid0(VALU_DEP_4)
	v_add_co_ci_u32_e32 v12, vcc_lo, v10, v12, vcc_lo
	s_clause 0x1
	global_load_b64 v[13:14], v[13:14], off
	global_load_b64 v[11:12], v[11:12], off
	s_waitcnt vmcnt(0)
	v_cmp_gt_i64_e32 vcc_lo, v[11:12], v[13:14]
	v_add_nc_u32_e32 v11, 1, v4
	v_cndmask_b32_e32 v7, v7, v4, vcc_lo
	s_delay_alu instid0(VALU_DEP_2) | instskip(NEXT) | instid1(VALU_DEP_1)
	v_cndmask_b32_e32 v6, v11, v6, vcc_lo
	v_cmp_ge_u32_e32 vcc_lo, v6, v7
	s_or_b32 s3, vcc_lo, s3
	s_delay_alu instid0(SALU_CYCLE_1)
	s_and_not1_b32 exec_lo, exec_lo, s3
	s_cbranch_execnz .LBB2_3
; %bb.4:
	s_or_b32 exec_lo, exec_lo, s3
.LBB2_5:
	s_delay_alu instid0(SALU_CYCLE_1) | instskip(SKIP_2) | instid1(VALU_DEP_1)
	s_or_b32 exec_lo, exec_lo, s2
	s_load_b64 s[0:1], s[0:1], 0x10
	v_dual_mov_b32 v1, 0 :: v_dual_add_nc_u32 v2, v6, v2
	v_lshlrev_b64 v[0:1], 2, v[0:1]
	s_waitcnt lgkmcnt(0)
	s_delay_alu instid0(VALU_DEP_1) | instskip(NEXT) | instid1(VALU_DEP_2)
	v_add_co_u32 v0, vcc_lo, s0, v0
	v_add_co_ci_u32_e32 v1, vcc_lo, s1, v1, vcc_lo
	global_store_b32 v[0:1], v2, off
.LBB2_6:
	s_nop 0
	s_sendmsg sendmsg(MSG_DEALLOC_VGPRS)
	s_endpgm
	.section	.rodata,"a",@progbits
	.p2align	6, 0x0
	.amdhsa_kernel _ZN7rocprim17ROCPRIM_304000_NS6detail45device_block_merge_mergepath_partition_kernelINS1_37wrapped_merge_sort_block_merge_configINS0_14default_configElN2at4cuda3cub6detail10OpaqueTypeILi1EEEEEPljNS1_19radix_merge_compareILb1ELb0ElNS0_19identity_decomposerEEEEEvT0_T1_jPSH_T2_SH_
		.amdhsa_group_segment_fixed_size 0
		.amdhsa_private_segment_fixed_size 0
		.amdhsa_kernarg_size 32
		.amdhsa_user_sgpr_count 15
		.amdhsa_user_sgpr_dispatch_ptr 0
		.amdhsa_user_sgpr_queue_ptr 0
		.amdhsa_user_sgpr_kernarg_segment_ptr 1
		.amdhsa_user_sgpr_dispatch_id 0
		.amdhsa_user_sgpr_private_segment_size 0
		.amdhsa_wavefront_size32 1
		.amdhsa_uses_dynamic_stack 0
		.amdhsa_enable_private_segment 0
		.amdhsa_system_sgpr_workgroup_id_x 1
		.amdhsa_system_sgpr_workgroup_id_y 0
		.amdhsa_system_sgpr_workgroup_id_z 0
		.amdhsa_system_sgpr_workgroup_info 0
		.amdhsa_system_vgpr_workitem_id 0
		.amdhsa_next_free_vgpr 15
		.amdhsa_next_free_sgpr 16
		.amdhsa_reserve_vcc 1
		.amdhsa_float_round_mode_32 0
		.amdhsa_float_round_mode_16_64 0
		.amdhsa_float_denorm_mode_32 3
		.amdhsa_float_denorm_mode_16_64 3
		.amdhsa_dx10_clamp 1
		.amdhsa_ieee_mode 1
		.amdhsa_fp16_overflow 0
		.amdhsa_workgroup_processor_mode 1
		.amdhsa_memory_ordered 1
		.amdhsa_forward_progress 0
		.amdhsa_shared_vgpr_count 0
		.amdhsa_exception_fp_ieee_invalid_op 0
		.amdhsa_exception_fp_denorm_src 0
		.amdhsa_exception_fp_ieee_div_zero 0
		.amdhsa_exception_fp_ieee_overflow 0
		.amdhsa_exception_fp_ieee_underflow 0
		.amdhsa_exception_fp_ieee_inexact 0
		.amdhsa_exception_int_div_zero 0
	.end_amdhsa_kernel
	.section	.text._ZN7rocprim17ROCPRIM_304000_NS6detail45device_block_merge_mergepath_partition_kernelINS1_37wrapped_merge_sort_block_merge_configINS0_14default_configElN2at4cuda3cub6detail10OpaqueTypeILi1EEEEEPljNS1_19radix_merge_compareILb1ELb0ElNS0_19identity_decomposerEEEEEvT0_T1_jPSH_T2_SH_,"axG",@progbits,_ZN7rocprim17ROCPRIM_304000_NS6detail45device_block_merge_mergepath_partition_kernelINS1_37wrapped_merge_sort_block_merge_configINS0_14default_configElN2at4cuda3cub6detail10OpaqueTypeILi1EEEEEPljNS1_19radix_merge_compareILb1ELb0ElNS0_19identity_decomposerEEEEEvT0_T1_jPSH_T2_SH_,comdat
.Lfunc_end2:
	.size	_ZN7rocprim17ROCPRIM_304000_NS6detail45device_block_merge_mergepath_partition_kernelINS1_37wrapped_merge_sort_block_merge_configINS0_14default_configElN2at4cuda3cub6detail10OpaqueTypeILi1EEEEEPljNS1_19radix_merge_compareILb1ELb0ElNS0_19identity_decomposerEEEEEvT0_T1_jPSH_T2_SH_, .Lfunc_end2-_ZN7rocprim17ROCPRIM_304000_NS6detail45device_block_merge_mergepath_partition_kernelINS1_37wrapped_merge_sort_block_merge_configINS0_14default_configElN2at4cuda3cub6detail10OpaqueTypeILi1EEEEEPljNS1_19radix_merge_compareILb1ELb0ElNS0_19identity_decomposerEEEEEvT0_T1_jPSH_T2_SH_
                                        ; -- End function
	.section	.AMDGPU.csdata,"",@progbits
; Kernel info:
; codeLenInByte = 464
; NumSgprs: 18
; NumVgprs: 15
; ScratchSize: 0
; MemoryBound: 0
; FloatMode: 240
; IeeeMode: 1
; LDSByteSize: 0 bytes/workgroup (compile time only)
; SGPRBlocks: 2
; VGPRBlocks: 1
; NumSGPRsForWavesPerEU: 18
; NumVGPRsForWavesPerEU: 15
; Occupancy: 16
; WaveLimiterHint : 0
; COMPUTE_PGM_RSRC2:SCRATCH_EN: 0
; COMPUTE_PGM_RSRC2:USER_SGPR: 15
; COMPUTE_PGM_RSRC2:TRAP_HANDLER: 0
; COMPUTE_PGM_RSRC2:TGID_X_EN: 1
; COMPUTE_PGM_RSRC2:TGID_Y_EN: 0
; COMPUTE_PGM_RSRC2:TGID_Z_EN: 0
; COMPUTE_PGM_RSRC2:TIDIG_COMP_CNT: 0
	.section	.text._ZN7rocprim17ROCPRIM_304000_NS6detail35device_block_merge_mergepath_kernelINS1_37wrapped_merge_sort_block_merge_configINS0_14default_configElN2at4cuda3cub6detail10OpaqueTypeILi1EEEEEPlSC_PSA_SD_jNS1_19radix_merge_compareILb1ELb0ElNS0_19identity_decomposerEEEEEvT0_T1_T2_T3_T4_SL_jT5_PKSL_NS1_7vsmem_tE,"axG",@progbits,_ZN7rocprim17ROCPRIM_304000_NS6detail35device_block_merge_mergepath_kernelINS1_37wrapped_merge_sort_block_merge_configINS0_14default_configElN2at4cuda3cub6detail10OpaqueTypeILi1EEEEEPlSC_PSA_SD_jNS1_19radix_merge_compareILb1ELb0ElNS0_19identity_decomposerEEEEEvT0_T1_T2_T3_T4_SL_jT5_PKSL_NS1_7vsmem_tE,comdat
	.protected	_ZN7rocprim17ROCPRIM_304000_NS6detail35device_block_merge_mergepath_kernelINS1_37wrapped_merge_sort_block_merge_configINS0_14default_configElN2at4cuda3cub6detail10OpaqueTypeILi1EEEEEPlSC_PSA_SD_jNS1_19radix_merge_compareILb1ELb0ElNS0_19identity_decomposerEEEEEvT0_T1_T2_T3_T4_SL_jT5_PKSL_NS1_7vsmem_tE ; -- Begin function _ZN7rocprim17ROCPRIM_304000_NS6detail35device_block_merge_mergepath_kernelINS1_37wrapped_merge_sort_block_merge_configINS0_14default_configElN2at4cuda3cub6detail10OpaqueTypeILi1EEEEEPlSC_PSA_SD_jNS1_19radix_merge_compareILb1ELb0ElNS0_19identity_decomposerEEEEEvT0_T1_T2_T3_T4_SL_jT5_PKSL_NS1_7vsmem_tE
	.globl	_ZN7rocprim17ROCPRIM_304000_NS6detail35device_block_merge_mergepath_kernelINS1_37wrapped_merge_sort_block_merge_configINS0_14default_configElN2at4cuda3cub6detail10OpaqueTypeILi1EEEEEPlSC_PSA_SD_jNS1_19radix_merge_compareILb1ELb0ElNS0_19identity_decomposerEEEEEvT0_T1_T2_T3_T4_SL_jT5_PKSL_NS1_7vsmem_tE
	.p2align	8
	.type	_ZN7rocprim17ROCPRIM_304000_NS6detail35device_block_merge_mergepath_kernelINS1_37wrapped_merge_sort_block_merge_configINS0_14default_configElN2at4cuda3cub6detail10OpaqueTypeILi1EEEEEPlSC_PSA_SD_jNS1_19radix_merge_compareILb1ELb0ElNS0_19identity_decomposerEEEEEvT0_T1_T2_T3_T4_SL_jT5_PKSL_NS1_7vsmem_tE,@function
_ZN7rocprim17ROCPRIM_304000_NS6detail35device_block_merge_mergepath_kernelINS1_37wrapped_merge_sort_block_merge_configINS0_14default_configElN2at4cuda3cub6detail10OpaqueTypeILi1EEEEEPlSC_PSA_SD_jNS1_19radix_merge_compareILb1ELb0ElNS0_19identity_decomposerEEEEEvT0_T1_T2_T3_T4_SL_jT5_PKSL_NS1_7vsmem_tE: ; @_ZN7rocprim17ROCPRIM_304000_NS6detail35device_block_merge_mergepath_kernelINS1_37wrapped_merge_sort_block_merge_configINS0_14default_configElN2at4cuda3cub6detail10OpaqueTypeILi1EEEEEPlSC_PSA_SD_jNS1_19radix_merge_compareILb1ELb0ElNS0_19identity_decomposerEEEEEvT0_T1_T2_T3_T4_SL_jT5_PKSL_NS1_7vsmem_tE
; %bb.0:
	s_clause 0x1
	s_load_b64 s[22:23], s[0:1], 0x40
	s_load_b128 s[16:19], s[0:1], 0x20
	s_add_u32 s20, s0, 64
	s_addc_u32 s21, s1, 0
	s_waitcnt lgkmcnt(0)
	s_mul_i32 s2, s23, s15
	s_delay_alu instid0(SALU_CYCLE_1) | instskip(NEXT) | instid1(SALU_CYCLE_1)
	s_add_i32 s2, s2, s14
	s_mul_i32 s2, s2, s22
	s_delay_alu instid0(SALU_CYCLE_1) | instskip(NEXT) | instid1(SALU_CYCLE_1)
	s_add_i32 s2, s2, s13
	s_cmp_ge_u32 s2, s18
	s_cbranch_scc1 .LBB3_53
; %bb.1:
	s_load_b64 s[4:5], s[0:1], 0x30
	s_lshr_b32 s27, s16, 10
	s_mov_b32 s15, 0
	s_cmp_lg_u32 s2, s27
	s_mov_b32 s3, s15
	s_cselect_b32 s23, -1, 0
	s_lshl_b64 s[6:7], s[2:3], 2
	v_mov_b32_e32 v2, 0
	s_mov_b32 s19, s15
	v_lshlrev_b32_e32 v9, 3, v0
	s_waitcnt lgkmcnt(0)
	s_add_u32 s4, s4, s6
	s_addc_u32 s5, s5, s7
	s_lshl_b32 s12, s2, 10
	s_load_b64 s[24:25], s[4:5], 0x0
	s_load_b256 s[4:11], s[0:1], 0x0
	global_load_b32 v1, v2, s[20:21] offset:14
	s_lshr_b32 s0, s17, 9
	s_delay_alu instid0(SALU_CYCLE_1) | instskip(NEXT) | instid1(SALU_CYCLE_1)
	s_and_b32 s0, s0, 0x7ffffe
	s_sub_i32 s0, 0, s0
	s_delay_alu instid0(SALU_CYCLE_1)
	s_and_b32 s1, s2, s0
	s_or_b32 s0, s2, s0
	s_lshl_b32 s3, s1, 11
	s_lshl_b32 s1, s1, 10
	s_add_i32 s3, s3, s17
	s_sub_i32 s14, s12, s1
	s_sub_i32 s1, s3, s1
	s_add_i32 s3, s3, s14
	s_min_u32 s26, s16, s1
	s_add_i32 s1, s1, s17
	s_waitcnt lgkmcnt(0)
	s_sub_i32 s14, s3, s24
	s_sub_i32 s3, s3, s25
	s_min_u32 s18, s16, s14
	s_addk_i32 s3, 0x400
	s_cmp_eq_u32 s0, -1
	s_mov_b32 s14, s24
	s_cselect_b32 s3, s1, s3
	s_cselect_b32 s17, s26, s25
	s_min_u32 s3, s3, s16
	s_lshl_b64 s[0:1], s[14:15], 3
	s_sub_i32 s17, s17, s24
	s_sub_i32 s24, s3, s18
	s_add_u32 s25, s4, s0
	s_addc_u32 s26, s5, s1
	s_lshl_b64 s[28:29], s[18:19], 3
	v_cmp_gt_u32_e32 vcc_lo, s17, v0
	s_add_u32 s1, s4, s28
	s_addc_u32 s4, s5, s29
	s_cmp_lt_u32 s13, s22
	s_cselect_b32 s0, 12, 18
	s_delay_alu instid0(SALU_CYCLE_1)
	s_add_u32 s20, s20, s0
	s_addc_u32 s21, s21, 0
	s_cmp_eq_u32 s2, s27
	s_mov_b32 s0, -1
	s_waitcnt vmcnt(0)
	v_lshrrev_b32_e32 v4, 16, v1
	v_and_b32_e32 v1, 0xffff, v1
	global_load_u16 v3, v2, s[20:21]
	v_mul_lo_u32 v1, v1, v4
	s_waitcnt vmcnt(0)
	s_delay_alu instid0(VALU_DEP_1) | instskip(NEXT) | instid1(VALU_DEP_1)
	v_mul_lo_u32 v1, v1, v3
	v_add_nc_u32_e32 v7, v1, v0
	s_cbranch_scc1 .LBB3_3
; %bb.2:
	v_subrev_nc_u32_e32 v1, s17, v0
	v_add_co_u32 v10, s0, s25, v9
	s_delay_alu instid0(VALU_DEP_1) | instskip(NEXT) | instid1(VALU_DEP_3)
	v_add_co_ci_u32_e64 v11, null, s26, 0, s0
	v_lshlrev_b64 v[3:4], 3, v[1:2]
	v_subrev_nc_u32_e32 v1, s17, v7
	s_add_i32 s3, s24, s17
	s_delay_alu instid0(VALU_DEP_2) | instskip(SKIP_1) | instid1(VALU_DEP_3)
	v_add_co_u32 v3, s0, s1, v3
	v_mov_b32_e32 v8, v2
	v_lshlrev_b64 v[1:2], 3, v[1:2]
	v_add_co_ci_u32_e64 v4, s0, s4, v4, s0
	s_delay_alu instid0(VALU_DEP_3) | instskip(NEXT) | instid1(VALU_DEP_1)
	v_lshlrev_b64 v[5:6], 3, v[7:8]
	v_add_co_u32 v5, s0, s25, v5
	s_delay_alu instid0(VALU_DEP_1)
	v_add_co_ci_u32_e64 v6, s0, s26, v6, s0
	v_add_co_u32 v8, s0, s1, v1
	v_cndmask_b32_e32 v1, v3, v10, vcc_lo
	v_add_co_ci_u32_e64 v12, s0, s4, v2, s0
	v_cmp_gt_u32_e64 s0, s17, v7
	v_cndmask_b32_e32 v2, v4, v11, vcc_lo
	s_delay_alu instid0(VALU_DEP_2) | instskip(SKIP_4) | instid1(SALU_CYCLE_1)
	v_cndmask_b32_e64 v4, v12, v6, s0
	v_cndmask_b32_e64 v3, v8, v5, s0
	global_load_b64 v[1:2], v[1:2], off
	global_load_b64 v[5:6], v[3:4], off
	s_mov_b32 s0, s15
	s_and_not1_b32 vcc_lo, exec_lo, s0
	s_cbranch_vccz .LBB3_4
	s_branch .LBB3_9
.LBB3_3:
                                        ; implicit-def: $vgpr5_vgpr6
                                        ; implicit-def: $sgpr3
                                        ; implicit-def: $vgpr1_vgpr2_vgpr3_vgpr4
	s_and_not1_b32 vcc_lo, exec_lo, s0
	s_cbranch_vccnz .LBB3_9
.LBB3_4:
	s_add_i32 s3, s24, s17
	s_mov_b32 s0, exec_lo
                                        ; implicit-def: $vgpr1_vgpr2
	v_cmpx_gt_u32_e64 s3, v0
	s_cbranch_execz .LBB3_6
; %bb.5:
	s_waitcnt vmcnt(1)
	v_subrev_nc_u32_e32 v1, s17, v0
	v_add_co_u32 v3, s2, s25, v9
	v_mov_b32_e32 v2, 0
	v_add_co_ci_u32_e64 v4, null, s26, 0, s2
	s_delay_alu instid0(VALU_DEP_2) | instskip(NEXT) | instid1(VALU_DEP_1)
	v_lshlrev_b64 v[1:2], 3, v[1:2]
	v_add_co_u32 v1, vcc_lo, s1, v1
	s_delay_alu instid0(VALU_DEP_2) | instskip(SKIP_1) | instid1(VALU_DEP_2)
	v_add_co_ci_u32_e32 v2, vcc_lo, s4, v2, vcc_lo
	v_cmp_gt_u32_e32 vcc_lo, s17, v0
	v_dual_cndmask_b32 v1, v1, v3 :: v_dual_cndmask_b32 v2, v2, v4
	global_load_b64 v[1:2], v[1:2], off
.LBB3_6:
	s_or_b32 exec_lo, exec_lo, s0
	s_delay_alu instid0(SALU_CYCLE_1)
	s_mov_b32 s2, exec_lo
	v_cmpx_gt_u32_e64 s3, v7
                                        ; implicit-def: $vgpr3_vgpr4_vgpr5_vgpr6
	s_cbranch_execz .LBB3_8
; %bb.7:
	v_mov_b32_e32 v8, 0
	s_delay_alu instid0(VALU_DEP_1) | instskip(SKIP_1) | instid1(VALU_DEP_1)
	v_lshlrev_b64 v[3:4], 3, v[7:8]
	s_waitcnt vmcnt(0)
	v_add_co_u32 v5, vcc_lo, s25, v3
	s_delay_alu instid0(VALU_DEP_2) | instskip(SKIP_2) | instid1(VALU_DEP_1)
	v_add_co_ci_u32_e32 v6, vcc_lo, s26, v4, vcc_lo
	v_cmp_gt_u32_e32 vcc_lo, s17, v7
	v_subrev_nc_u32_e32 v7, s17, v7
	v_lshlrev_b64 v[3:4], 3, v[7:8]
	s_delay_alu instid0(VALU_DEP_1) | instskip(NEXT) | instid1(VALU_DEP_1)
	v_add_co_u32 v3, s0, s1, v3
	v_add_co_ci_u32_e64 v4, s0, s4, v4, s0
	s_delay_alu instid0(VALU_DEP_1)
	v_dual_cndmask_b32 v3, v3, v5 :: v_dual_cndmask_b32 v4, v4, v6
	global_load_b64 v[5:6], v[3:4], off
.LBB3_8:
	s_or_b32 exec_lo, exec_lo, s2
.LBB3_9:
	v_lshlrev_b32_e32 v7, 1, v0
	s_mov_b32 s0, exec_lo
	s_waitcnt vmcnt(0)
	ds_store_2addr_stride64_b64 v9, v[1:2], v[5:6] offset1:8
	s_waitcnt lgkmcnt(0)
	s_barrier
	v_min_u32_e32 v3, s3, v7
	buffer_gl0_inv
	v_sub_nc_u32_e64 v8, v3, s24 clamp
	v_min_u32_e32 v4, s17, v3
	s_delay_alu instid0(VALU_DEP_1)
	v_cmpx_lt_u32_e64 v8, v4
	s_cbranch_execz .LBB3_13
; %bb.10:
	v_lshlrev_b32_e32 v10, 3, v3
	s_mov_b32 s1, 0
	s_delay_alu instid0(VALU_DEP_1)
	v_lshl_add_u32 v10, s17, 3, v10
	.p2align	6
.LBB3_11:                               ; =>This Inner Loop Header: Depth=1
	v_add_nc_u32_e32 v11, v4, v8
	s_delay_alu instid0(VALU_DEP_1) | instskip(NEXT) | instid1(VALU_DEP_1)
	v_lshrrev_b32_e32 v15, 1, v11
	v_not_b32_e32 v11, v15
	v_lshlrev_b32_e32 v12, 3, v15
	s_delay_alu instid0(VALU_DEP_2)
	v_lshl_add_u32 v13, v11, 3, v10
	ds_load_b64 v[11:12], v12
	ds_load_b64 v[13:14], v13
	s_waitcnt lgkmcnt(0)
	v_cmp_gt_i64_e32 vcc_lo, v[13:14], v[11:12]
	v_add_nc_u32_e32 v11, 1, v15
	v_cndmask_b32_e32 v4, v4, v15, vcc_lo
	s_delay_alu instid0(VALU_DEP_2) | instskip(NEXT) | instid1(VALU_DEP_1)
	v_cndmask_b32_e32 v8, v11, v8, vcc_lo
	v_cmp_ge_u32_e32 vcc_lo, v8, v4
	s_or_b32 s1, vcc_lo, s1
	s_delay_alu instid0(SALU_CYCLE_1)
	s_and_not1_b32 exec_lo, exec_lo, s1
	s_cbranch_execnz .LBB3_11
; %bb.12:
	s_or_b32 exec_lo, exec_lo, s1
.LBB3_13:
	s_delay_alu instid0(SALU_CYCLE_1) | instskip(SKIP_2) | instid1(VALU_DEP_2)
	s_or_b32 exec_lo, exec_lo, s0
	v_sub_nc_u32_e32 v3, v3, v8
	v_cmp_ge_u32_e32 vcc_lo, s17, v8
                                        ; implicit-def: $vgpr10
                                        ; implicit-def: $vgpr11
	v_add_nc_u32_e32 v12, s17, v3
	s_delay_alu instid0(VALU_DEP_1) | instskip(NEXT) | instid1(VALU_DEP_1)
	v_cmp_ge_u32_e64 s0, s3, v12
	s_or_b32 s0, vcc_lo, s0
	s_delay_alu instid0(SALU_CYCLE_1)
	s_and_saveexec_b32 s4, s0
	s_cbranch_execz .LBB3_19
; %bb.14:
	v_cmp_gt_u32_e32 vcc_lo, s17, v8
                                        ; implicit-def: $vgpr1_vgpr2
	s_and_saveexec_b32 s0, vcc_lo
	s_cbranch_execz .LBB3_16
; %bb.15:
	v_lshlrev_b32_e32 v1, 3, v8
	ds_load_b64 v[1:2], v1
.LBB3_16:
	s_or_b32 exec_lo, exec_lo, s0
	v_cmp_le_u32_e64 s0, s3, v12
	s_mov_b32 s2, exec_lo
                                        ; implicit-def: $vgpr3_vgpr4
	v_cmpx_gt_u32_e64 s3, v12
	s_cbranch_execz .LBB3_18
; %bb.17:
	v_lshlrev_b32_e32 v3, 3, v12
	ds_load_b64 v[3:4], v3
.LBB3_18:
	s_or_b32 exec_lo, exec_lo, s2
	s_waitcnt lgkmcnt(0)
	v_cmp_le_i64_e64 s1, v[3:4], v[1:2]
	s_delay_alu instid0(VALU_DEP_1) | instskip(NEXT) | instid1(SALU_CYCLE_1)
	s_and_b32 s1, vcc_lo, s1
	s_or_b32 vcc_lo, s0, s1
	v_cndmask_b32_e32 v11, v12, v8, vcc_lo
	s_delay_alu instid0(VALU_DEP_1) | instskip(NEXT) | instid1(VALU_DEP_1)
	v_dual_mov_b32 v5, s17 :: v_dual_add_nc_u32 v10, 1, v11
	v_cndmask_b32_e32 v5, s3, v5, vcc_lo
	s_delay_alu instid0(VALU_DEP_1) | instskip(NEXT) | instid1(VALU_DEP_1)
	v_dual_cndmask_b32 v8, v8, v10 :: v_dual_add_nc_u32 v5, -1, v5
	v_cmp_gt_u32_e64 s1, s17, v8
	s_delay_alu instid0(VALU_DEP_2) | instskip(NEXT) | instid1(VALU_DEP_1)
	v_min_u32_e32 v5, v10, v5
	v_dual_cndmask_b32 v10, v10, v12 :: v_dual_lshlrev_b32 v5, 3, v5
	s_delay_alu instid0(VALU_DEP_1)
	v_cmp_le_u32_e64 s2, s3, v10
	ds_load_b64 v[5:6], v5
	s_waitcnt lgkmcnt(0)
	v_dual_cndmask_b32 v14, v6, v4 :: v_dual_cndmask_b32 v13, v5, v3
	v_dual_cndmask_b32 v6, v2, v6 :: v_dual_cndmask_b32 v5, v1, v5
	;; [unrolled: 1-line block ×3, first 2 shown]
	s_delay_alu instid0(VALU_DEP_2) | instskip(NEXT) | instid1(VALU_DEP_1)
	v_cmp_le_i64_e64 s0, v[13:14], v[5:6]
	s_and_b32 s0, s1, s0
	s_delay_alu instid0(SALU_CYCLE_1)
	s_or_b32 vcc_lo, s2, s0
	v_cndmask_b32_e32 v10, v10, v8, vcc_lo
	v_dual_cndmask_b32 v6, v14, v6 :: v_dual_cndmask_b32 v5, v13, v5
.LBB3_19:
	s_or_b32 exec_lo, exec_lo, s4
	s_add_u32 s4, s8, s14
	v_cmp_gt_u32_e64 s1, s17, v0
	v_cmp_le_u32_e64 s0, s17, v0
	v_or_b32_e32 v8, 0x200, v0
	s_addc_u32 s5, s9, 0
	s_add_u32 s8, s8, s18
	s_mov_b32 s2, 0
	s_addc_u32 s9, s9, 0
	s_and_not1_b32 vcc_lo, exec_lo, s23
	s_barrier
	buffer_gl0_inv
	s_cbranch_vccnz .LBB3_21
; %bb.20:
	v_subrev_nc_u32_e32 v3, s17, v0
	v_add_co_u32 v13, s2, s4, v0
	s_delay_alu instid0(VALU_DEP_1) | instskip(NEXT) | instid1(VALU_DEP_3)
	v_add_co_ci_u32_e64 v14, null, s5, 0, s2
	v_add_co_u32 v3, s2, s8, v3
	s_delay_alu instid0(VALU_DEP_1) | instskip(SKIP_1) | instid1(VALU_DEP_3)
	v_add_co_ci_u32_e64 v4, null, s9, 0, s2
	v_or_b32_e32 v12, 0x200, v0
	v_cndmask_b32_e64 v3, v3, v13, s1
	v_add_co_u32 v13, vcc_lo, 0x200, v13
	s_delay_alu instid0(VALU_DEP_4)
	v_cndmask_b32_e64 v4, v4, v14, s1
	s_mov_b32 s2, -1
	global_load_u8 v15, v[3:4], off
	v_subrev_nc_u32_e32 v3, s17, v12
	v_add_co_ci_u32_e32 v4, vcc_lo, 0, v14, vcc_lo
	v_cmp_gt_u32_e32 vcc_lo, s17, v12
	s_delay_alu instid0(VALU_DEP_3) | instskip(NEXT) | instid1(VALU_DEP_1)
	v_add_co_u32 v3, s1, s8, v3
	v_add_co_ci_u32_e64 v14, null, s9, 0, s1
	s_delay_alu instid0(VALU_DEP_1)
	v_dual_cndmask_b32 v3, v3, v13 :: v_dual_cndmask_b32 v4, v14, v4
	s_waitcnt vmcnt(0)
	ds_store_b8 v0, v15
	s_cbranch_execz .LBB3_22
	s_branch .LBB3_33
.LBB3_21:
                                        ; implicit-def: $vgpr12
                                        ; implicit-def: $vgpr3_vgpr4
.LBB3_22:
	s_mov_b32 s1, 0
                                        ; implicit-def: $vgpr3_vgpr4
	s_and_saveexec_b32 s13, s0
	s_delay_alu instid0(SALU_CYCLE_1)
	s_xor_b32 s0, exec_lo, s13
	s_cbranch_execnz .LBB3_54
; %bb.23:
	s_and_not1_saveexec_b32 s0, s0
	s_cbranch_execnz .LBB3_57
.LBB3_24:
	s_or_b32 exec_lo, exec_lo, s0
	s_and_saveexec_b32 s0, s1
	s_cbranch_execz .LBB3_26
.LBB3_25:
	global_load_u8 v3, v[3:4], off
	s_waitcnt vmcnt(0)
	ds_store_b8 v0, v3
.LBB3_26:
	s_or_b32 exec_lo, exec_lo, s0
	s_delay_alu instid0(SALU_CYCLE_1)
	s_mov_b32 s0, exec_lo
                                        ; implicit-def: $vgpr12
                                        ; implicit-def: $vgpr3_vgpr4
	v_cmpx_le_u32_e64 s17, v8
	s_xor_b32 s0, exec_lo, s0
	s_cbranch_execz .LBB3_30
; %bb.27:
	v_subrev_nc_u32_e32 v13, s17, v8
	s_mov_b32 s1, s2
	s_mov_b32 s13, exec_lo
                                        ; implicit-def: $vgpr12
                                        ; implicit-def: $vgpr3_vgpr4
	s_delay_alu instid0(VALU_DEP_1)
	v_cmpx_gt_u32_e64 s24, v13
; %bb.28:
	v_add_co_u32 v3, s1, s8, v13
	v_or_b32_e32 v12, 0x200, v0
	v_add_co_ci_u32_e64 v4, null, s9, 0, s1
	s_or_b32 s1, s2, exec_lo
; %bb.29:
	s_or_b32 exec_lo, exec_lo, s13
	s_delay_alu instid0(SALU_CYCLE_1) | instskip(SKIP_1) | instid1(SALU_CYCLE_1)
	s_and_not1_b32 s2, s2, exec_lo
	s_and_b32 s1, s1, exec_lo
	s_or_b32 s2, s2, s1
.LBB3_30:
	s_and_not1_saveexec_b32 s0, s0
; %bb.31:
	v_add_co_u32 v3, s1, s4, v0
	s_delay_alu instid0(VALU_DEP_1) | instskip(SKIP_1) | instid1(VALU_DEP_3)
	v_add_co_ci_u32_e64 v4, null, s5, 0, s1
	v_mov_b32_e32 v12, v8
	v_add_co_u32 v3, vcc_lo, 0x200, v3
	s_delay_alu instid0(VALU_DEP_3)
	v_add_co_ci_u32_e32 v4, vcc_lo, 0, v4, vcc_lo
	s_or_b32 s2, s2, exec_lo
; %bb.32:
	s_or_b32 exec_lo, exec_lo, s0
.LBB3_33:
	s_and_saveexec_b32 s0, s2
	s_cbranch_execz .LBB3_35
; %bb.34:
	global_load_u8 v3, v[3:4], off
	s_waitcnt vmcnt(0)
	ds_store_b8 v12, v3
.LBB3_35:
	s_or_b32 exec_lo, exec_lo, s0
	v_add_nc_u32_e32 v12, s12, v7
	s_and_not1_b32 vcc_lo, exec_lo, s23
	s_waitcnt lgkmcnt(0)
	s_barrier
	buffer_gl0_inv
	s_cbranch_vccnz .LBB3_37
; %bb.36:
	ds_load_u8 v3, v11
	v_mov_b32_e32 v4, 0
	s_mov_b32 s0, -1
	s_waitcnt lgkmcnt(0)
	global_store_b8 v12, v3, s[10:11]
	s_cbranch_execz .LBB3_38
	s_branch .LBB3_43
.LBB3_37:
	s_mov_b32 s0, 0
                                        ; implicit-def: $vgpr3_vgpr4
.LBB3_38:
	s_mov_b32 s1, exec_lo
	v_cmpx_gt_u32_e64 s3, v7
	s_cbranch_execz .LBB3_40
; %bb.39:
	ds_load_u8 v3, v11
	s_waitcnt lgkmcnt(0)
	global_store_b8 v12, v3, s[10:11]
.LBB3_40:
	s_or_b32 exec_lo, exec_lo, s1
	v_or_b32_e32 v3, 1, v7
	s_mov_b32 s1, exec_lo
	s_delay_alu instid0(VALU_DEP_1)
	v_cmpx_gt_u32_e64 s3, v3
                                        ; implicit-def: $vgpr3_vgpr4
; %bb.41:
	v_mov_b32_e32 v4, 0
	s_or_b32 s0, s0, exec_lo
; %bb.42:
	s_or_b32 exec_lo, exec_lo, s1
.LBB3_43:
	s_and_saveexec_b32 s1, s0
	s_cbranch_execz .LBB3_45
; %bb.44:
	ds_load_u8 v10, v10
	v_add_co_u32 v3, vcc_lo, s10, v12
	v_add_co_ci_u32_e32 v4, vcc_lo, s11, v4, vcc_lo
	s_waitcnt lgkmcnt(0)
	global_store_b8 v[3:4], v10, off offset:1
.LBB3_45:
	s_or_b32 exec_lo, exec_lo, s1
	v_lshrrev_b32_e32 v3, 1, v0
	v_lshrrev_b32_e32 v4, 2, v0
	;; [unrolled: 1-line block ×3, first 2 shown]
	s_mov_b32 s13, 0
	s_waitcnt_vscnt null, 0x0
	v_and_b32_e32 v3, 0xf8, v3
	s_lshl_b64 s[0:1], s[12:13], 3
	v_and_b32_e32 v4, 0x78, v4
	s_add_u32 s0, s6, s0
	s_barrier
	v_lshl_add_u32 v3, v7, 3, v3
	v_and_b32_e32 v7, 0xf8, v10
	buffer_gl0_inv
	s_barrier
	buffer_gl0_inv
	s_addc_u32 s1, s7, s1
	ds_store_2addr_b64 v3, v[1:2], v[5:6] offset1:1
	v_add_co_u32 v1, s0, s0, v9
	v_add_nc_u32_e32 v5, v9, v4
	v_add_nc_u32_e32 v6, v9, v7
	v_add_co_ci_u32_e64 v2, null, s1, 0, s0
	s_and_b32 vcc_lo, exec_lo, s23
	s_waitcnt lgkmcnt(0)
	s_cbranch_vccz .LBB3_47
; %bb.46:
	s_barrier
	buffer_gl0_inv
	ds_load_b64 v[9:10], v5
	ds_load_b64 v[3:4], v6 offset:4096
	s_mov_b32 s13, -1
	s_waitcnt lgkmcnt(1)
	global_store_b64 v[1:2], v[9:10], off
	s_cbranch_execz .LBB3_48
	s_branch .LBB3_51
.LBB3_47:
                                        ; implicit-def: $vgpr3_vgpr4
.LBB3_48:
	s_waitcnt lgkmcnt(0)
	s_waitcnt_vscnt null, 0x0
	s_barrier
	buffer_gl0_inv
	ds_load_b64 v[3:4], v6 offset:4096
	s_sub_i32 s0, s16, s12
	s_mov_b32 s1, exec_lo
	v_cmpx_gt_u32_e64 s0, v0
	s_cbranch_execz .LBB3_50
; %bb.49:
	ds_load_b64 v[5:6], v5
	s_waitcnt lgkmcnt(0)
	global_store_b64 v[1:2], v[5:6], off
.LBB3_50:
	s_or_b32 exec_lo, exec_lo, s1
	v_cmp_gt_u32_e64 s13, s0, v8
.LBB3_51:
	s_delay_alu instid0(VALU_DEP_1)
	s_and_saveexec_b32 s0, s13
	s_cbranch_execz .LBB3_53
; %bb.52:
	v_add_co_u32 v0, vcc_lo, 0x1000, v1
	v_add_co_ci_u32_e32 v1, vcc_lo, 0, v2, vcc_lo
	s_waitcnt lgkmcnt(0)
	global_store_b64 v[0:1], v[3:4], off
.LBB3_53:
	s_nop 0
	s_sendmsg sendmsg(MSG_DEALLOC_VGPRS)
	s_endpgm
.LBB3_54:
	v_subrev_nc_u32_e32 v12, s17, v0
	s_mov_b32 s13, exec_lo
                                        ; implicit-def: $vgpr3_vgpr4
	s_delay_alu instid0(VALU_DEP_1)
	v_cmpx_gt_u32_e64 s24, v12
	s_xor_b32 s13, exec_lo, s13
; %bb.55:
	v_add_co_u32 v3, s14, s8, v12
	s_mov_b32 s1, exec_lo
	v_add_co_ci_u32_e64 v4, null, s9, 0, s14
; %bb.56:
	s_or_b32 exec_lo, exec_lo, s13
	s_delay_alu instid0(SALU_CYCLE_1)
	s_and_b32 s1, s1, exec_lo
	s_and_not1_saveexec_b32 s0, s0
	s_cbranch_execz .LBB3_24
.LBB3_57:
	v_add_co_u32 v3, s13, s4, v0
	s_delay_alu instid0(VALU_DEP_1)
	v_add_co_ci_u32_e64 v4, null, s5, 0, s13
	s_or_b32 s1, s1, exec_lo
	s_or_b32 exec_lo, exec_lo, s0
	s_and_saveexec_b32 s0, s1
	s_cbranch_execnz .LBB3_25
	s_branch .LBB3_26
	.section	.rodata,"a",@progbits
	.p2align	6, 0x0
	.amdhsa_kernel _ZN7rocprim17ROCPRIM_304000_NS6detail35device_block_merge_mergepath_kernelINS1_37wrapped_merge_sort_block_merge_configINS0_14default_configElN2at4cuda3cub6detail10OpaqueTypeILi1EEEEEPlSC_PSA_SD_jNS1_19radix_merge_compareILb1ELb0ElNS0_19identity_decomposerEEEEEvT0_T1_T2_T3_T4_SL_jT5_PKSL_NS1_7vsmem_tE
		.amdhsa_group_segment_fixed_size 8448
		.amdhsa_private_segment_fixed_size 0
		.amdhsa_kernarg_size 320
		.amdhsa_user_sgpr_count 13
		.amdhsa_user_sgpr_dispatch_ptr 0
		.amdhsa_user_sgpr_queue_ptr 0
		.amdhsa_user_sgpr_kernarg_segment_ptr 1
		.amdhsa_user_sgpr_dispatch_id 0
		.amdhsa_user_sgpr_private_segment_size 0
		.amdhsa_wavefront_size32 1
		.amdhsa_uses_dynamic_stack 0
		.amdhsa_enable_private_segment 0
		.amdhsa_system_sgpr_workgroup_id_x 1
		.amdhsa_system_sgpr_workgroup_id_y 1
		.amdhsa_system_sgpr_workgroup_id_z 1
		.amdhsa_system_sgpr_workgroup_info 0
		.amdhsa_system_vgpr_workitem_id 0
		.amdhsa_next_free_vgpr 16
		.amdhsa_next_free_sgpr 30
		.amdhsa_reserve_vcc 1
		.amdhsa_float_round_mode_32 0
		.amdhsa_float_round_mode_16_64 0
		.amdhsa_float_denorm_mode_32 3
		.amdhsa_float_denorm_mode_16_64 3
		.amdhsa_dx10_clamp 1
		.amdhsa_ieee_mode 1
		.amdhsa_fp16_overflow 0
		.amdhsa_workgroup_processor_mode 1
		.amdhsa_memory_ordered 1
		.amdhsa_forward_progress 0
		.amdhsa_shared_vgpr_count 0
		.amdhsa_exception_fp_ieee_invalid_op 0
		.amdhsa_exception_fp_denorm_src 0
		.amdhsa_exception_fp_ieee_div_zero 0
		.amdhsa_exception_fp_ieee_overflow 0
		.amdhsa_exception_fp_ieee_underflow 0
		.amdhsa_exception_fp_ieee_inexact 0
		.amdhsa_exception_int_div_zero 0
	.end_amdhsa_kernel
	.section	.text._ZN7rocprim17ROCPRIM_304000_NS6detail35device_block_merge_mergepath_kernelINS1_37wrapped_merge_sort_block_merge_configINS0_14default_configElN2at4cuda3cub6detail10OpaqueTypeILi1EEEEEPlSC_PSA_SD_jNS1_19radix_merge_compareILb1ELb0ElNS0_19identity_decomposerEEEEEvT0_T1_T2_T3_T4_SL_jT5_PKSL_NS1_7vsmem_tE,"axG",@progbits,_ZN7rocprim17ROCPRIM_304000_NS6detail35device_block_merge_mergepath_kernelINS1_37wrapped_merge_sort_block_merge_configINS0_14default_configElN2at4cuda3cub6detail10OpaqueTypeILi1EEEEEPlSC_PSA_SD_jNS1_19radix_merge_compareILb1ELb0ElNS0_19identity_decomposerEEEEEvT0_T1_T2_T3_T4_SL_jT5_PKSL_NS1_7vsmem_tE,comdat
.Lfunc_end3:
	.size	_ZN7rocprim17ROCPRIM_304000_NS6detail35device_block_merge_mergepath_kernelINS1_37wrapped_merge_sort_block_merge_configINS0_14default_configElN2at4cuda3cub6detail10OpaqueTypeILi1EEEEEPlSC_PSA_SD_jNS1_19radix_merge_compareILb1ELb0ElNS0_19identity_decomposerEEEEEvT0_T1_T2_T3_T4_SL_jT5_PKSL_NS1_7vsmem_tE, .Lfunc_end3-_ZN7rocprim17ROCPRIM_304000_NS6detail35device_block_merge_mergepath_kernelINS1_37wrapped_merge_sort_block_merge_configINS0_14default_configElN2at4cuda3cub6detail10OpaqueTypeILi1EEEEEPlSC_PSA_SD_jNS1_19radix_merge_compareILb1ELb0ElNS0_19identity_decomposerEEEEEvT0_T1_T2_T3_T4_SL_jT5_PKSL_NS1_7vsmem_tE
                                        ; -- End function
	.section	.AMDGPU.csdata,"",@progbits
; Kernel info:
; codeLenInByte = 2328
; NumSgprs: 32
; NumVgprs: 16
; ScratchSize: 0
; MemoryBound: 0
; FloatMode: 240
; IeeeMode: 1
; LDSByteSize: 8448 bytes/workgroup (compile time only)
; SGPRBlocks: 3
; VGPRBlocks: 1
; NumSGPRsForWavesPerEU: 32
; NumVGPRsForWavesPerEU: 16
; Occupancy: 16
; WaveLimiterHint : 1
; COMPUTE_PGM_RSRC2:SCRATCH_EN: 0
; COMPUTE_PGM_RSRC2:USER_SGPR: 13
; COMPUTE_PGM_RSRC2:TRAP_HANDLER: 0
; COMPUTE_PGM_RSRC2:TGID_X_EN: 1
; COMPUTE_PGM_RSRC2:TGID_Y_EN: 1
; COMPUTE_PGM_RSRC2:TGID_Z_EN: 1
; COMPUTE_PGM_RSRC2:TIDIG_COMP_CNT: 0
	.section	.text._ZN7rocprim17ROCPRIM_304000_NS6detail33device_block_merge_oddeven_kernelINS1_37wrapped_merge_sort_block_merge_configINS0_14default_configElN2at4cuda3cub6detail10OpaqueTypeILi1EEEEEPlSC_PSA_SD_jNS1_19radix_merge_compareILb1ELb0ElNS0_19identity_decomposerEEEEEvT0_T1_T2_T3_T4_SL_T5_,"axG",@progbits,_ZN7rocprim17ROCPRIM_304000_NS6detail33device_block_merge_oddeven_kernelINS1_37wrapped_merge_sort_block_merge_configINS0_14default_configElN2at4cuda3cub6detail10OpaqueTypeILi1EEEEEPlSC_PSA_SD_jNS1_19radix_merge_compareILb1ELb0ElNS0_19identity_decomposerEEEEEvT0_T1_T2_T3_T4_SL_T5_,comdat
	.protected	_ZN7rocprim17ROCPRIM_304000_NS6detail33device_block_merge_oddeven_kernelINS1_37wrapped_merge_sort_block_merge_configINS0_14default_configElN2at4cuda3cub6detail10OpaqueTypeILi1EEEEEPlSC_PSA_SD_jNS1_19radix_merge_compareILb1ELb0ElNS0_19identity_decomposerEEEEEvT0_T1_T2_T3_T4_SL_T5_ ; -- Begin function _ZN7rocprim17ROCPRIM_304000_NS6detail33device_block_merge_oddeven_kernelINS1_37wrapped_merge_sort_block_merge_configINS0_14default_configElN2at4cuda3cub6detail10OpaqueTypeILi1EEEEEPlSC_PSA_SD_jNS1_19radix_merge_compareILb1ELb0ElNS0_19identity_decomposerEEEEEvT0_T1_T2_T3_T4_SL_T5_
	.globl	_ZN7rocprim17ROCPRIM_304000_NS6detail33device_block_merge_oddeven_kernelINS1_37wrapped_merge_sort_block_merge_configINS0_14default_configElN2at4cuda3cub6detail10OpaqueTypeILi1EEEEEPlSC_PSA_SD_jNS1_19radix_merge_compareILb1ELb0ElNS0_19identity_decomposerEEEEEvT0_T1_T2_T3_T4_SL_T5_
	.p2align	8
	.type	_ZN7rocprim17ROCPRIM_304000_NS6detail33device_block_merge_oddeven_kernelINS1_37wrapped_merge_sort_block_merge_configINS0_14default_configElN2at4cuda3cub6detail10OpaqueTypeILi1EEEEEPlSC_PSA_SD_jNS1_19radix_merge_compareILb1ELb0ElNS0_19identity_decomposerEEEEEvT0_T1_T2_T3_T4_SL_T5_,@function
_ZN7rocprim17ROCPRIM_304000_NS6detail33device_block_merge_oddeven_kernelINS1_37wrapped_merge_sort_block_merge_configINS0_14default_configElN2at4cuda3cub6detail10OpaqueTypeILi1EEEEEPlSC_PSA_SD_jNS1_19radix_merge_compareILb1ELb0ElNS0_19identity_decomposerEEEEEvT0_T1_T2_T3_T4_SL_T5_: ; @_ZN7rocprim17ROCPRIM_304000_NS6detail33device_block_merge_oddeven_kernelINS1_37wrapped_merge_sort_block_merge_configINS0_14default_configElN2at4cuda3cub6detail10OpaqueTypeILi1EEEEEPlSC_PSA_SD_jNS1_19radix_merge_compareILb1ELb0ElNS0_19identity_decomposerEEEEEvT0_T1_T2_T3_T4_SL_T5_
; %bb.0:
	s_load_b64 s[16:17], s[0:1], 0x20
	s_waitcnt lgkmcnt(0)
	s_lshr_b32 s2, s16, 8
	s_delay_alu instid0(SALU_CYCLE_1) | instskip(SKIP_4) | instid1(SALU_CYCLE_1)
	s_cmp_lg_u32 s15, s2
	s_cselect_b32 s4, -1, 0
	s_cmp_eq_u32 s15, s2
	s_cselect_b32 s3, -1, 0
	s_lshl_b32 s12, s15, 8
	s_sub_i32 s2, s16, s12
	s_delay_alu instid0(SALU_CYCLE_1) | instskip(NEXT) | instid1(VALU_DEP_1)
	v_cmp_gt_u32_e64 s2, s2, v0
	s_or_b32 s4, s4, s2
	s_delay_alu instid0(SALU_CYCLE_1)
	s_and_saveexec_b32 s5, s4
	s_cbranch_execz .LBB4_26
; %bb.1:
	s_load_b256 s[4:11], s[0:1], 0x0
	s_mov_b32 s13, 0
	v_lshlrev_b32_e32 v1, 3, v0
	s_lshl_b64 s[0:1], s[12:13], 3
	v_add_nc_u32_e32 v5, s12, v0
	s_waitcnt lgkmcnt(0)
	s_add_u32 s0, s4, s0
	s_addc_u32 s1, s5, s1
	s_add_u32 s8, s8, s12
	s_addc_u32 s9, s9, 0
	global_load_u8 v7, v0, s[8:9]
	global_load_b64 v[1:2], v1, s[0:1]
	s_lshr_b32 s0, s17, 8
	s_delay_alu instid0(SALU_CYCLE_1) | instskip(NEXT) | instid1(SALU_CYCLE_1)
	s_sub_i32 s1, 0, s0
	s_and_b32 s1, s15, s1
	s_delay_alu instid0(SALU_CYCLE_1) | instskip(SKIP_4) | instid1(SALU_CYCLE_1)
	s_and_b32 s0, s1, s0
	s_lshl_b32 s9, s1, 8
	s_sub_i32 s1, 0, s17
	s_cmp_eq_u32 s0, 0
	s_cselect_b32 s0, -1, 0
	s_and_b32 s8, s0, exec_lo
	s_cselect_b32 s1, s17, s1
	s_delay_alu instid0(SALU_CYCLE_1) | instskip(NEXT) | instid1(SALU_CYCLE_1)
	s_add_i32 s1, s1, s9
	s_cmp_lt_u32 s1, s16
	s_cbranch_scc1 .LBB4_6
; %bb.2:
	s_and_b32 vcc_lo, exec_lo, s3
	s_cbranch_vccz .LBB4_7
; %bb.3:
	s_mov_b32 s8, 0
	s_mov_b32 s12, exec_lo
                                        ; implicit-def: $vgpr3_vgpr4
	v_cmpx_gt_u32_e64 s16, v5
	s_cbranch_execz .LBB4_5
; %bb.4:
	v_mov_b32_e32 v6, 0
	s_mov_b32 s13, exec_lo
	s_delay_alu instid0(VALU_DEP_1) | instskip(NEXT) | instid1(VALU_DEP_1)
	v_lshlrev_b64 v[3:4], 3, v[5:6]
	v_add_co_u32 v8, vcc_lo, s6, v3
	v_add_co_u32 v3, s14, s10, v5
	s_delay_alu instid0(VALU_DEP_3)
	v_add_co_ci_u32_e32 v9, vcc_lo, s7, v4, vcc_lo
	v_add_co_ci_u32_e64 v4, null, s11, 0, s14
	s_waitcnt vmcnt(0)
	global_store_b64 v[8:9], v[1:2], off
.LBB4_5:
	s_or_b32 exec_lo, exec_lo, s12
	s_delay_alu instid0(SALU_CYCLE_1)
	s_and_b32 vcc_lo, exec_lo, s8
	s_cbranch_vccnz .LBB4_8
	s_branch .LBB4_9
.LBB4_6:
                                        ; implicit-def: $vgpr3_vgpr4
	s_cbranch_execnz .LBB4_10
	s_branch .LBB4_24
.LBB4_7:
                                        ; implicit-def: $vgpr3_vgpr4
	s_cbranch_execz .LBB4_9
.LBB4_8:
	v_mov_b32_e32 v6, 0
	s_or_b32 s13, s13, exec_lo
	s_delay_alu instid0(VALU_DEP_1) | instskip(NEXT) | instid1(VALU_DEP_1)
	v_lshlrev_b64 v[3:4], 3, v[5:6]
	v_add_co_u32 v8, vcc_lo, s6, v3
	v_add_co_u32 v3, s8, s10, v5
	s_delay_alu instid0(VALU_DEP_3)
	v_add_co_ci_u32_e32 v9, vcc_lo, s7, v4, vcc_lo
	v_add_co_ci_u32_e64 v4, null, s11, 0, s8
	s_waitcnt vmcnt(0)
	global_store_b64 v[8:9], v[1:2], off
.LBB4_9:
	s_branch .LBB4_24
.LBB4_10:
	s_min_u32 s8, s1, s16
	s_and_b32 vcc_lo, exec_lo, s3
	s_add_i32 s12, s9, s8
	s_min_u32 s9, s9, s8
	v_subrev_nc_u32_e32 v0, s12, v5
	s_add_i32 s12, s8, s17
	s_delay_alu instid0(SALU_CYCLE_1) | instskip(NEXT) | instid1(VALU_DEP_1)
	s_min_u32 s3, s12, s16
	v_add_nc_u32_e32 v0, s9, v0
	s_cbranch_vccz .LBB4_18
; %bb.11:
                                        ; implicit-def: $vgpr3_vgpr4
	s_and_saveexec_b32 s9, s2
	s_cbranch_execz .LBB4_17
; %bb.12:
	v_mov_b32_e32 v5, s8
	s_cmp_ge_u32 s1, s3
	s_cbranch_scc1 .LBB4_16
; %bb.13:
	v_dual_mov_b32 v6, s3 :: v_dual_mov_b32 v5, s8
	v_mov_b32_e32 v4, 0
	s_mov_b32 s2, 0
	.p2align	6
.LBB4_14:                               ; =>This Inner Loop Header: Depth=1
	s_delay_alu instid0(VALU_DEP_2) | instskip(NEXT) | instid1(VALU_DEP_1)
	v_add_nc_u32_e32 v3, v5, v6
	v_lshrrev_b32_e32 v3, 1, v3
	s_delay_alu instid0(VALU_DEP_1) | instskip(NEXT) | instid1(VALU_DEP_1)
	v_lshlrev_b64 v[8:9], 3, v[3:4]
	v_add_co_u32 v8, vcc_lo, s4, v8
	s_delay_alu instid0(VALU_DEP_2)
	v_add_co_ci_u32_e32 v9, vcc_lo, s5, v9, vcc_lo
	global_load_b64 v[8:9], v[8:9], off
	s_waitcnt vmcnt(0)
	v_cmp_gt_i64_e32 vcc_lo, v[8:9], v[1:2]
	v_cndmask_b32_e64 v10, 0, 1, vcc_lo
	v_cmp_le_i64_e32 vcc_lo, v[1:2], v[8:9]
	v_add_nc_u32_e32 v9, 1, v3
	v_cndmask_b32_e64 v8, 0, 1, vcc_lo
	s_delay_alu instid0(VALU_DEP_1) | instskip(NEXT) | instid1(VALU_DEP_1)
	v_cndmask_b32_e64 v8, v8, v10, s0
	v_and_b32_e32 v8, 1, v8
	s_delay_alu instid0(VALU_DEP_1) | instskip(SKIP_1) | instid1(VALU_DEP_1)
	v_cmp_eq_u32_e32 vcc_lo, 1, v8
	v_dual_cndmask_b32 v6, v3, v6 :: v_dual_cndmask_b32 v5, v5, v9
	v_cmp_ge_u32_e32 vcc_lo, v5, v6
	s_or_b32 s2, vcc_lo, s2
	s_delay_alu instid0(SALU_CYCLE_1)
	s_and_not1_b32 exec_lo, exec_lo, s2
	s_cbranch_execnz .LBB4_14
; %bb.15:
	s_or_b32 exec_lo, exec_lo, s2
.LBB4_16:
	s_delay_alu instid0(VALU_DEP_1) | instskip(SKIP_1) | instid1(VALU_DEP_1)
	v_dual_mov_b32 v4, 0 :: v_dual_add_nc_u32 v3, v5, v0
	s_or_b32 s13, s13, exec_lo
	v_lshlrev_b64 v[4:5], 3, v[3:4]
	v_add_co_u32 v3, s2, s10, v3
	s_delay_alu instid0(VALU_DEP_2) | instskip(NEXT) | instid1(VALU_DEP_3)
	v_add_co_u32 v8, vcc_lo, s6, v4
	v_add_co_ci_u32_e32 v9, vcc_lo, s7, v5, vcc_lo
	v_add_co_ci_u32_e64 v4, null, s11, 0, s2
	s_waitcnt vmcnt(0)
	global_store_b64 v[8:9], v[1:2], off
.LBB4_17:
	s_or_b32 exec_lo, exec_lo, s9
	s_branch .LBB4_24
.LBB4_18:
                                        ; implicit-def: $vgpr3_vgpr4
	s_cbranch_execz .LBB4_24
; %bb.19:
	v_mov_b32_e32 v5, s8
	s_cmp_ge_u32 s1, s3
	s_cbranch_scc1 .LBB4_23
; %bb.20:
	v_dual_mov_b32 v6, s3 :: v_dual_mov_b32 v5, s8
	v_mov_b32_e32 v4, 0
	s_mov_b32 s1, 0
	.p2align	6
.LBB4_21:                               ; =>This Inner Loop Header: Depth=1
	s_delay_alu instid0(VALU_DEP_2) | instskip(NEXT) | instid1(VALU_DEP_1)
	v_add_nc_u32_e32 v3, v5, v6
	v_lshrrev_b32_e32 v3, 1, v3
	s_delay_alu instid0(VALU_DEP_1) | instskip(NEXT) | instid1(VALU_DEP_1)
	v_lshlrev_b64 v[8:9], 3, v[3:4]
	v_add_co_u32 v8, vcc_lo, s4, v8
	s_delay_alu instid0(VALU_DEP_2)
	v_add_co_ci_u32_e32 v9, vcc_lo, s5, v9, vcc_lo
	global_load_b64 v[8:9], v[8:9], off
	s_waitcnt vmcnt(0)
	v_cmp_gt_i64_e32 vcc_lo, v[8:9], v[1:2]
	v_cndmask_b32_e64 v10, 0, 1, vcc_lo
	v_cmp_le_i64_e32 vcc_lo, v[1:2], v[8:9]
	v_add_nc_u32_e32 v9, 1, v3
	v_cndmask_b32_e64 v8, 0, 1, vcc_lo
	s_delay_alu instid0(VALU_DEP_1) | instskip(NEXT) | instid1(VALU_DEP_1)
	v_cndmask_b32_e64 v8, v8, v10, s0
	v_and_b32_e32 v8, 1, v8
	s_delay_alu instid0(VALU_DEP_1) | instskip(SKIP_1) | instid1(VALU_DEP_1)
	v_cmp_eq_u32_e32 vcc_lo, 1, v8
	v_dual_cndmask_b32 v6, v3, v6 :: v_dual_cndmask_b32 v5, v5, v9
	v_cmp_ge_u32_e32 vcc_lo, v5, v6
	s_or_b32 s1, vcc_lo, s1
	s_delay_alu instid0(SALU_CYCLE_1)
	s_and_not1_b32 exec_lo, exec_lo, s1
	s_cbranch_execnz .LBB4_21
; %bb.22:
	s_or_b32 exec_lo, exec_lo, s1
.LBB4_23:
	s_delay_alu instid0(VALU_DEP_1) | instskip(SKIP_1) | instid1(VALU_DEP_1)
	v_dual_mov_b32 v4, 0 :: v_dual_add_nc_u32 v3, v5, v0
	s_mov_b32 s13, -1
	v_lshlrev_b64 v[4:5], 3, v[3:4]
	v_add_co_u32 v3, s0, s10, v3
	s_delay_alu instid0(VALU_DEP_2) | instskip(NEXT) | instid1(VALU_DEP_3)
	v_add_co_u32 v8, vcc_lo, s6, v4
	v_add_co_ci_u32_e32 v9, vcc_lo, s7, v5, vcc_lo
	v_add_co_ci_u32_e64 v4, null, s11, 0, s0
	s_waitcnt vmcnt(0)
	global_store_b64 v[8:9], v[1:2], off
.LBB4_24:
	s_and_b32 exec_lo, exec_lo, s13
	s_cbranch_execz .LBB4_26
; %bb.25:
	s_waitcnt vmcnt(1)
	global_store_b8 v[3:4], v7, off
.LBB4_26:
	s_nop 0
	s_sendmsg sendmsg(MSG_DEALLOC_VGPRS)
	s_endpgm
	.section	.rodata,"a",@progbits
	.p2align	6, 0x0
	.amdhsa_kernel _ZN7rocprim17ROCPRIM_304000_NS6detail33device_block_merge_oddeven_kernelINS1_37wrapped_merge_sort_block_merge_configINS0_14default_configElN2at4cuda3cub6detail10OpaqueTypeILi1EEEEEPlSC_PSA_SD_jNS1_19radix_merge_compareILb1ELb0ElNS0_19identity_decomposerEEEEEvT0_T1_T2_T3_T4_SL_T5_
		.amdhsa_group_segment_fixed_size 0
		.amdhsa_private_segment_fixed_size 0
		.amdhsa_kernarg_size 44
		.amdhsa_user_sgpr_count 15
		.amdhsa_user_sgpr_dispatch_ptr 0
		.amdhsa_user_sgpr_queue_ptr 0
		.amdhsa_user_sgpr_kernarg_segment_ptr 1
		.amdhsa_user_sgpr_dispatch_id 0
		.amdhsa_user_sgpr_private_segment_size 0
		.amdhsa_wavefront_size32 1
		.amdhsa_uses_dynamic_stack 0
		.amdhsa_enable_private_segment 0
		.amdhsa_system_sgpr_workgroup_id_x 1
		.amdhsa_system_sgpr_workgroup_id_y 0
		.amdhsa_system_sgpr_workgroup_id_z 0
		.amdhsa_system_sgpr_workgroup_info 0
		.amdhsa_system_vgpr_workitem_id 0
		.amdhsa_next_free_vgpr 11
		.amdhsa_next_free_sgpr 18
		.amdhsa_reserve_vcc 1
		.amdhsa_float_round_mode_32 0
		.amdhsa_float_round_mode_16_64 0
		.amdhsa_float_denorm_mode_32 3
		.amdhsa_float_denorm_mode_16_64 3
		.amdhsa_dx10_clamp 1
		.amdhsa_ieee_mode 1
		.amdhsa_fp16_overflow 0
		.amdhsa_workgroup_processor_mode 1
		.amdhsa_memory_ordered 1
		.amdhsa_forward_progress 0
		.amdhsa_shared_vgpr_count 0
		.amdhsa_exception_fp_ieee_invalid_op 0
		.amdhsa_exception_fp_denorm_src 0
		.amdhsa_exception_fp_ieee_div_zero 0
		.amdhsa_exception_fp_ieee_overflow 0
		.amdhsa_exception_fp_ieee_underflow 0
		.amdhsa_exception_fp_ieee_inexact 0
		.amdhsa_exception_int_div_zero 0
	.end_amdhsa_kernel
	.section	.text._ZN7rocprim17ROCPRIM_304000_NS6detail33device_block_merge_oddeven_kernelINS1_37wrapped_merge_sort_block_merge_configINS0_14default_configElN2at4cuda3cub6detail10OpaqueTypeILi1EEEEEPlSC_PSA_SD_jNS1_19radix_merge_compareILb1ELb0ElNS0_19identity_decomposerEEEEEvT0_T1_T2_T3_T4_SL_T5_,"axG",@progbits,_ZN7rocprim17ROCPRIM_304000_NS6detail33device_block_merge_oddeven_kernelINS1_37wrapped_merge_sort_block_merge_configINS0_14default_configElN2at4cuda3cub6detail10OpaqueTypeILi1EEEEEPlSC_PSA_SD_jNS1_19radix_merge_compareILb1ELb0ElNS0_19identity_decomposerEEEEEvT0_T1_T2_T3_T4_SL_T5_,comdat
.Lfunc_end4:
	.size	_ZN7rocprim17ROCPRIM_304000_NS6detail33device_block_merge_oddeven_kernelINS1_37wrapped_merge_sort_block_merge_configINS0_14default_configElN2at4cuda3cub6detail10OpaqueTypeILi1EEEEEPlSC_PSA_SD_jNS1_19radix_merge_compareILb1ELb0ElNS0_19identity_decomposerEEEEEvT0_T1_T2_T3_T4_SL_T5_, .Lfunc_end4-_ZN7rocprim17ROCPRIM_304000_NS6detail33device_block_merge_oddeven_kernelINS1_37wrapped_merge_sort_block_merge_configINS0_14default_configElN2at4cuda3cub6detail10OpaqueTypeILi1EEEEEPlSC_PSA_SD_jNS1_19radix_merge_compareILb1ELb0ElNS0_19identity_decomposerEEEEEvT0_T1_T2_T3_T4_SL_T5_
                                        ; -- End function
	.section	.AMDGPU.csdata,"",@progbits
; Kernel info:
; codeLenInByte = 944
; NumSgprs: 20
; NumVgprs: 11
; ScratchSize: 0
; MemoryBound: 0
; FloatMode: 240
; IeeeMode: 1
; LDSByteSize: 0 bytes/workgroup (compile time only)
; SGPRBlocks: 2
; VGPRBlocks: 1
; NumSGPRsForWavesPerEU: 20
; NumVGPRsForWavesPerEU: 11
; Occupancy: 16
; WaveLimiterHint : 0
; COMPUTE_PGM_RSRC2:SCRATCH_EN: 0
; COMPUTE_PGM_RSRC2:USER_SGPR: 15
; COMPUTE_PGM_RSRC2:TRAP_HANDLER: 0
; COMPUTE_PGM_RSRC2:TGID_X_EN: 1
; COMPUTE_PGM_RSRC2:TGID_Y_EN: 0
; COMPUTE_PGM_RSRC2:TGID_Z_EN: 0
; COMPUTE_PGM_RSRC2:TIDIG_COMP_CNT: 0
	.section	.text._ZN7rocprim17ROCPRIM_304000_NS6detail16transform_kernelINS1_24wrapped_transform_configINS0_14default_configElEElPlS6_NS0_8identityIlEEEEvT1_mT2_T3_,"axG",@progbits,_ZN7rocprim17ROCPRIM_304000_NS6detail16transform_kernelINS1_24wrapped_transform_configINS0_14default_configElEElPlS6_NS0_8identityIlEEEEvT1_mT2_T3_,comdat
	.protected	_ZN7rocprim17ROCPRIM_304000_NS6detail16transform_kernelINS1_24wrapped_transform_configINS0_14default_configElEElPlS6_NS0_8identityIlEEEEvT1_mT2_T3_ ; -- Begin function _ZN7rocprim17ROCPRIM_304000_NS6detail16transform_kernelINS1_24wrapped_transform_configINS0_14default_configElEElPlS6_NS0_8identityIlEEEEvT1_mT2_T3_
	.globl	_ZN7rocprim17ROCPRIM_304000_NS6detail16transform_kernelINS1_24wrapped_transform_configINS0_14default_configElEElPlS6_NS0_8identityIlEEEEvT1_mT2_T3_
	.p2align	8
	.type	_ZN7rocprim17ROCPRIM_304000_NS6detail16transform_kernelINS1_24wrapped_transform_configINS0_14default_configElEElPlS6_NS0_8identityIlEEEEvT1_mT2_T3_,@function
_ZN7rocprim17ROCPRIM_304000_NS6detail16transform_kernelINS1_24wrapped_transform_configINS0_14default_configElEElPlS6_NS0_8identityIlEEEEvT1_mT2_T3_: ; @_ZN7rocprim17ROCPRIM_304000_NS6detail16transform_kernelINS1_24wrapped_transform_configINS0_14default_configElEElPlS6_NS0_8identityIlEEEEvT1_mT2_T3_
; %bb.0:
	s_clause 0x2
	s_load_b32 s3, s[0:1], 0x20
	s_load_b128 s[4:7], s[0:1], 0x0
	s_load_b64 s[0:1], s[0:1], 0x10
	v_lshlrev_b32_e32 v2, 3, v0
	s_lshl_b32 s2, s15, 9
	s_waitcnt lgkmcnt(0)
	s_add_i32 s7, s3, -1
	s_mov_b32 s3, 0
	s_cmp_lg_u32 s15, s7
	s_mov_b32 s7, -1
	s_cbranch_scc0 .LBB5_2
; %bb.1:
	s_lshl_b64 s[8:9], s[2:3], 3
	s_mov_b32 s7, s3
	s_add_u32 s10, s4, s8
	s_addc_u32 s11, s5, s9
	s_add_u32 s8, s0, s8
	global_load_b64 v[3:4], v2, s[10:11]
	s_addc_u32 s9, s1, s9
	s_waitcnt vmcnt(0)
	global_store_b64 v2, v[3:4], s[8:9]
.LBB5_2:
	s_and_not1_b32 vcc_lo, exec_lo, s7
	s_cbranch_vccnz .LBB5_7
; %bb.3:
	s_sub_i32 s6, s6, s2
	s_delay_alu instid0(SALU_CYCLE_1)
	v_cmp_gt_u32_e32 vcc_lo, s6, v0
                                        ; implicit-def: $vgpr0_vgpr1
	s_and_saveexec_b32 s6, vcc_lo
	s_cbranch_execz .LBB5_5
; %bb.4:
	s_lshl_b64 s[8:9], s[2:3], 3
	s_delay_alu instid0(SALU_CYCLE_1)
	s_add_u32 s4, s4, s8
	s_addc_u32 s5, s5, s9
	global_load_b64 v[0:1], v2, s[4:5]
.LBB5_5:
	s_or_b32 exec_lo, exec_lo, s6
	s_and_saveexec_b32 s4, vcc_lo
	s_cbranch_execz .LBB5_7
; %bb.6:
	s_lshl_b64 s[2:3], s[2:3], 3
	s_delay_alu instid0(SALU_CYCLE_1)
	s_add_u32 s0, s0, s2
	s_addc_u32 s1, s1, s3
	s_waitcnt vmcnt(0)
	global_store_b64 v2, v[0:1], s[0:1]
.LBB5_7:
	s_nop 0
	s_sendmsg sendmsg(MSG_DEALLOC_VGPRS)
	s_endpgm
	.section	.rodata,"a",@progbits
	.p2align	6, 0x0
	.amdhsa_kernel _ZN7rocprim17ROCPRIM_304000_NS6detail16transform_kernelINS1_24wrapped_transform_configINS0_14default_configElEElPlS6_NS0_8identityIlEEEEvT1_mT2_T3_
		.amdhsa_group_segment_fixed_size 0
		.amdhsa_private_segment_fixed_size 0
		.amdhsa_kernarg_size 288
		.amdhsa_user_sgpr_count 15
		.amdhsa_user_sgpr_dispatch_ptr 0
		.amdhsa_user_sgpr_queue_ptr 0
		.amdhsa_user_sgpr_kernarg_segment_ptr 1
		.amdhsa_user_sgpr_dispatch_id 0
		.amdhsa_user_sgpr_private_segment_size 0
		.amdhsa_wavefront_size32 1
		.amdhsa_uses_dynamic_stack 0
		.amdhsa_enable_private_segment 0
		.amdhsa_system_sgpr_workgroup_id_x 1
		.amdhsa_system_sgpr_workgroup_id_y 0
		.amdhsa_system_sgpr_workgroup_id_z 0
		.amdhsa_system_sgpr_workgroup_info 0
		.amdhsa_system_vgpr_workitem_id 0
		.amdhsa_next_free_vgpr 5
		.amdhsa_next_free_sgpr 16
		.amdhsa_reserve_vcc 1
		.amdhsa_float_round_mode_32 0
		.amdhsa_float_round_mode_16_64 0
		.amdhsa_float_denorm_mode_32 3
		.amdhsa_float_denorm_mode_16_64 3
		.amdhsa_dx10_clamp 1
		.amdhsa_ieee_mode 1
		.amdhsa_fp16_overflow 0
		.amdhsa_workgroup_processor_mode 1
		.amdhsa_memory_ordered 1
		.amdhsa_forward_progress 0
		.amdhsa_shared_vgpr_count 0
		.amdhsa_exception_fp_ieee_invalid_op 0
		.amdhsa_exception_fp_denorm_src 0
		.amdhsa_exception_fp_ieee_div_zero 0
		.amdhsa_exception_fp_ieee_overflow 0
		.amdhsa_exception_fp_ieee_underflow 0
		.amdhsa_exception_fp_ieee_inexact 0
		.amdhsa_exception_int_div_zero 0
	.end_amdhsa_kernel
	.section	.text._ZN7rocprim17ROCPRIM_304000_NS6detail16transform_kernelINS1_24wrapped_transform_configINS0_14default_configElEElPlS6_NS0_8identityIlEEEEvT1_mT2_T3_,"axG",@progbits,_ZN7rocprim17ROCPRIM_304000_NS6detail16transform_kernelINS1_24wrapped_transform_configINS0_14default_configElEElPlS6_NS0_8identityIlEEEEvT1_mT2_T3_,comdat
.Lfunc_end5:
	.size	_ZN7rocprim17ROCPRIM_304000_NS6detail16transform_kernelINS1_24wrapped_transform_configINS0_14default_configElEElPlS6_NS0_8identityIlEEEEvT1_mT2_T3_, .Lfunc_end5-_ZN7rocprim17ROCPRIM_304000_NS6detail16transform_kernelINS1_24wrapped_transform_configINS0_14default_configElEElPlS6_NS0_8identityIlEEEEvT1_mT2_T3_
                                        ; -- End function
	.section	.AMDGPU.csdata,"",@progbits
; Kernel info:
; codeLenInByte = 208
; NumSgprs: 18
; NumVgprs: 5
; ScratchSize: 0
; MemoryBound: 0
; FloatMode: 240
; IeeeMode: 1
; LDSByteSize: 0 bytes/workgroup (compile time only)
; SGPRBlocks: 2
; VGPRBlocks: 0
; NumSGPRsForWavesPerEU: 18
; NumVGPRsForWavesPerEU: 5
; Occupancy: 16
; WaveLimiterHint : 0
; COMPUTE_PGM_RSRC2:SCRATCH_EN: 0
; COMPUTE_PGM_RSRC2:USER_SGPR: 15
; COMPUTE_PGM_RSRC2:TRAP_HANDLER: 0
; COMPUTE_PGM_RSRC2:TGID_X_EN: 1
; COMPUTE_PGM_RSRC2:TGID_Y_EN: 0
; COMPUTE_PGM_RSRC2:TGID_Z_EN: 0
; COMPUTE_PGM_RSRC2:TIDIG_COMP_CNT: 0
	.section	.text._ZN7rocprim17ROCPRIM_304000_NS6detail16transform_kernelINS1_24wrapped_transform_configINS0_14default_configEN2at4cuda3cub6detail10OpaqueTypeILi1EEEEESA_PSA_SC_NS0_8identityISA_EEEEvT1_mT2_T3_,"axG",@progbits,_ZN7rocprim17ROCPRIM_304000_NS6detail16transform_kernelINS1_24wrapped_transform_configINS0_14default_configEN2at4cuda3cub6detail10OpaqueTypeILi1EEEEESA_PSA_SC_NS0_8identityISA_EEEEvT1_mT2_T3_,comdat
	.protected	_ZN7rocprim17ROCPRIM_304000_NS6detail16transform_kernelINS1_24wrapped_transform_configINS0_14default_configEN2at4cuda3cub6detail10OpaqueTypeILi1EEEEESA_PSA_SC_NS0_8identityISA_EEEEvT1_mT2_T3_ ; -- Begin function _ZN7rocprim17ROCPRIM_304000_NS6detail16transform_kernelINS1_24wrapped_transform_configINS0_14default_configEN2at4cuda3cub6detail10OpaqueTypeILi1EEEEESA_PSA_SC_NS0_8identityISA_EEEEvT1_mT2_T3_
	.globl	_ZN7rocprim17ROCPRIM_304000_NS6detail16transform_kernelINS1_24wrapped_transform_configINS0_14default_configEN2at4cuda3cub6detail10OpaqueTypeILi1EEEEESA_PSA_SC_NS0_8identityISA_EEEEvT1_mT2_T3_
	.p2align	8
	.type	_ZN7rocprim17ROCPRIM_304000_NS6detail16transform_kernelINS1_24wrapped_transform_configINS0_14default_configEN2at4cuda3cub6detail10OpaqueTypeILi1EEEEESA_PSA_SC_NS0_8identityISA_EEEEvT1_mT2_T3_,@function
_ZN7rocprim17ROCPRIM_304000_NS6detail16transform_kernelINS1_24wrapped_transform_configINS0_14default_configEN2at4cuda3cub6detail10OpaqueTypeILi1EEEEESA_PSA_SC_NS0_8identityISA_EEEEvT1_mT2_T3_: ; @_ZN7rocprim17ROCPRIM_304000_NS6detail16transform_kernelINS1_24wrapped_transform_configINS0_14default_configEN2at4cuda3cub6detail10OpaqueTypeILi1EEEEESA_PSA_SC_NS0_8identityISA_EEEEvT1_mT2_T3_
; %bb.0:
	s_clause 0x2
	s_load_b32 s8, s[0:1], 0x20
	s_load_b128 s[4:7], s[0:1], 0x0
	s_load_b64 s[2:3], s[0:1], 0x10
	s_waitcnt lgkmcnt(0)
	s_lshl_b32 s7, s15, 12
	s_add_i32 s8, s8, -1
	s_add_u32 s0, s4, s7
	s_addc_u32 s1, s5, 0
	v_add_co_u32 v1, s0, s0, v0
	s_delay_alu instid0(VALU_DEP_1)
	v_add_co_ci_u32_e64 v2, null, s1, 0, s0
	s_mov_b32 s4, 0
	s_cmp_lg_u32 s15, s8
	s_mov_b32 s0, -1
	s_cbranch_scc0 .LBB6_2
; %bb.1:
	s_clause 0x3
	global_load_u8 v6, v[1:2], off
	global_load_u8 v7, v[1:2], off offset:1024
	global_load_u8 v8, v[1:2], off offset:2048
	;; [unrolled: 1-line block ×3, first 2 shown]
	s_add_u32 s0, s2, s7
	s_addc_u32 s1, s3, 0
	v_add_co_u32 v4, s0, s0, v0
	s_delay_alu instid0(VALU_DEP_1)
	v_add_co_ci_u32_e64 v5, null, s1, 0, s0
	s_mov_b32 s4, -1
	s_waitcnt vmcnt(3)
	global_store_b8 v[4:5], v6, off
	s_waitcnt vmcnt(2)
	global_store_b8 v[4:5], v7, off offset:1024
	s_waitcnt vmcnt(1)
	global_store_b8 v[4:5], v8, off offset:2048
	s_cbranch_execz .LBB6_3
	s_branch .LBB6_16
.LBB6_2:
                                        ; implicit-def: $vgpr3
	s_and_not1_b32 vcc_lo, exec_lo, s0
	s_cbranch_vccnz .LBB6_16
.LBB6_3:
	s_sub_i32 s4, s6, s7
                                        ; implicit-def: $vgpr4
	s_delay_alu instid0(SALU_CYCLE_1)
	v_cmp_gt_u32_e32 vcc_lo, s4, v0
	s_and_saveexec_b32 s0, vcc_lo
	s_cbranch_execz .LBB6_5
; %bb.4:
	global_load_u8 v4, v[1:2], off
.LBB6_5:
	s_or_b32 exec_lo, exec_lo, s0
	s_waitcnt vmcnt(0)
	v_or_b32_e32 v3, 0x400, v0
                                        ; implicit-def: $vgpr5
	s_delay_alu instid0(VALU_DEP_1) | instskip(NEXT) | instid1(VALU_DEP_1)
	v_cmp_gt_u32_e64 s0, s4, v3
	s_and_saveexec_b32 s1, s0
	s_cbranch_execz .LBB6_7
; %bb.6:
	global_load_u8 v5, v[1:2], off offset:1024
.LBB6_7:
	s_or_b32 exec_lo, exec_lo, s1
	v_or_b32_e32 v3, 0x800, v0
                                        ; implicit-def: $vgpr6
	s_delay_alu instid0(VALU_DEP_1) | instskip(NEXT) | instid1(VALU_DEP_1)
	v_cmp_gt_u32_e64 s1, s4, v3
	s_and_saveexec_b32 s5, s1
	s_cbranch_execz .LBB6_9
; %bb.8:
	global_load_u8 v6, v[1:2], off offset:2048
.LBB6_9:
	s_or_b32 exec_lo, exec_lo, s5
	v_or_b32_e32 v3, 0xc00, v0
	s_delay_alu instid0(VALU_DEP_1) | instskip(NEXT) | instid1(VALU_DEP_1)
	v_cmp_gt_u32_e64 s4, s4, v3
                                        ; implicit-def: $vgpr3
	s_and_saveexec_b32 s5, s4
	s_cbranch_execz .LBB6_11
; %bb.10:
	global_load_u8 v3, v[1:2], off offset:3072
.LBB6_11:
	s_or_b32 exec_lo, exec_lo, s5
	s_add_u32 s5, s2, s7
	s_addc_u32 s6, s3, 0
	v_add_co_u32 v1, s5, s5, v0
	s_delay_alu instid0(VALU_DEP_1) | instskip(SKIP_1) | instid1(SALU_CYCLE_1)
	v_add_co_ci_u32_e64 v2, null, s6, 0, s5
	s_and_saveexec_b32 s5, vcc_lo
	s_xor_b32 s5, exec_lo, s5
	s_cbranch_execnz .LBB6_19
; %bb.12:
	s_or_b32 exec_lo, exec_lo, s5
	s_and_saveexec_b32 s5, s0
	s_cbranch_execnz .LBB6_20
.LBB6_13:
	s_or_b32 exec_lo, exec_lo, s5
	s_and_saveexec_b32 s0, s1
	s_cbranch_execz .LBB6_15
.LBB6_14:
	s_waitcnt vmcnt(0)
	global_store_b8 v[1:2], v6, off offset:2048
.LBB6_15:
	s_or_b32 exec_lo, exec_lo, s0
.LBB6_16:
	s_and_saveexec_b32 s0, s4
	s_cbranch_execnz .LBB6_18
; %bb.17:
	s_nop 0
	s_sendmsg sendmsg(MSG_DEALLOC_VGPRS)
	s_endpgm
.LBB6_18:
	s_add_u32 s0, s2, s7
	s_addc_u32 s1, s3, 0
	v_add_co_u32 v0, s0, s0, v0
	s_delay_alu instid0(VALU_DEP_1)
	v_add_co_ci_u32_e64 v1, null, s1, 0, s0
	s_waitcnt vmcnt(0)
	global_store_b8 v[0:1], v3, off offset:3072
	s_nop 0
	s_sendmsg sendmsg(MSG_DEALLOC_VGPRS)
	s_endpgm
.LBB6_19:
	global_store_b8 v[1:2], v4, off
	s_or_b32 exec_lo, exec_lo, s5
	s_and_saveexec_b32 s5, s0
	s_cbranch_execz .LBB6_13
.LBB6_20:
	s_waitcnt vmcnt(0)
	global_store_b8 v[1:2], v5, off offset:1024
	s_or_b32 exec_lo, exec_lo, s5
	s_and_saveexec_b32 s0, s1
	s_cbranch_execnz .LBB6_14
	s_branch .LBB6_15
	.section	.rodata,"a",@progbits
	.p2align	6, 0x0
	.amdhsa_kernel _ZN7rocprim17ROCPRIM_304000_NS6detail16transform_kernelINS1_24wrapped_transform_configINS0_14default_configEN2at4cuda3cub6detail10OpaqueTypeILi1EEEEESA_PSA_SC_NS0_8identityISA_EEEEvT1_mT2_T3_
		.amdhsa_group_segment_fixed_size 0
		.amdhsa_private_segment_fixed_size 0
		.amdhsa_kernarg_size 288
		.amdhsa_user_sgpr_count 15
		.amdhsa_user_sgpr_dispatch_ptr 0
		.amdhsa_user_sgpr_queue_ptr 0
		.amdhsa_user_sgpr_kernarg_segment_ptr 1
		.amdhsa_user_sgpr_dispatch_id 0
		.amdhsa_user_sgpr_private_segment_size 0
		.amdhsa_wavefront_size32 1
		.amdhsa_uses_dynamic_stack 0
		.amdhsa_enable_private_segment 0
		.amdhsa_system_sgpr_workgroup_id_x 1
		.amdhsa_system_sgpr_workgroup_id_y 0
		.amdhsa_system_sgpr_workgroup_id_z 0
		.amdhsa_system_sgpr_workgroup_info 0
		.amdhsa_system_vgpr_workitem_id 0
		.amdhsa_next_free_vgpr 9
		.amdhsa_next_free_sgpr 16
		.amdhsa_reserve_vcc 1
		.amdhsa_float_round_mode_32 0
		.amdhsa_float_round_mode_16_64 0
		.amdhsa_float_denorm_mode_32 3
		.amdhsa_float_denorm_mode_16_64 3
		.amdhsa_dx10_clamp 1
		.amdhsa_ieee_mode 1
		.amdhsa_fp16_overflow 0
		.amdhsa_workgroup_processor_mode 1
		.amdhsa_memory_ordered 1
		.amdhsa_forward_progress 0
		.amdhsa_shared_vgpr_count 0
		.amdhsa_exception_fp_ieee_invalid_op 0
		.amdhsa_exception_fp_denorm_src 0
		.amdhsa_exception_fp_ieee_div_zero 0
		.amdhsa_exception_fp_ieee_overflow 0
		.amdhsa_exception_fp_ieee_underflow 0
		.amdhsa_exception_fp_ieee_inexact 0
		.amdhsa_exception_int_div_zero 0
	.end_amdhsa_kernel
	.section	.text._ZN7rocprim17ROCPRIM_304000_NS6detail16transform_kernelINS1_24wrapped_transform_configINS0_14default_configEN2at4cuda3cub6detail10OpaqueTypeILi1EEEEESA_PSA_SC_NS0_8identityISA_EEEEvT1_mT2_T3_,"axG",@progbits,_ZN7rocprim17ROCPRIM_304000_NS6detail16transform_kernelINS1_24wrapped_transform_configINS0_14default_configEN2at4cuda3cub6detail10OpaqueTypeILi1EEEEESA_PSA_SC_NS0_8identityISA_EEEEvT1_mT2_T3_,comdat
.Lfunc_end6:
	.size	_ZN7rocprim17ROCPRIM_304000_NS6detail16transform_kernelINS1_24wrapped_transform_configINS0_14default_configEN2at4cuda3cub6detail10OpaqueTypeILi1EEEEESA_PSA_SC_NS0_8identityISA_EEEEvT1_mT2_T3_, .Lfunc_end6-_ZN7rocprim17ROCPRIM_304000_NS6detail16transform_kernelINS1_24wrapped_transform_configINS0_14default_configEN2at4cuda3cub6detail10OpaqueTypeILi1EEEEESA_PSA_SC_NS0_8identityISA_EEEEvT1_mT2_T3_
                                        ; -- End function
	.section	.AMDGPU.csdata,"",@progbits
; Kernel info:
; codeLenInByte = 560
; NumSgprs: 18
; NumVgprs: 9
; ScratchSize: 0
; MemoryBound: 0
; FloatMode: 240
; IeeeMode: 1
; LDSByteSize: 0 bytes/workgroup (compile time only)
; SGPRBlocks: 2
; VGPRBlocks: 1
; NumSGPRsForWavesPerEU: 18
; NumVGPRsForWavesPerEU: 9
; Occupancy: 16
; WaveLimiterHint : 1
; COMPUTE_PGM_RSRC2:SCRATCH_EN: 0
; COMPUTE_PGM_RSRC2:USER_SGPR: 15
; COMPUTE_PGM_RSRC2:TRAP_HANDLER: 0
; COMPUTE_PGM_RSRC2:TGID_X_EN: 1
; COMPUTE_PGM_RSRC2:TGID_Y_EN: 0
; COMPUTE_PGM_RSRC2:TGID_Z_EN: 0
; COMPUTE_PGM_RSRC2:TIDIG_COMP_CNT: 0
	.section	.text._ZN7rocprim17ROCPRIM_304000_NS6detail45device_block_merge_mergepath_partition_kernelINS1_37wrapped_merge_sort_block_merge_configINS0_14default_configElN2at4cuda3cub6detail10OpaqueTypeILi1EEEEEPljNS1_19radix_merge_compareILb1ELb1ElNS0_19identity_decomposerEEEEEvT0_T1_jPSH_T2_SH_,"axG",@progbits,_ZN7rocprim17ROCPRIM_304000_NS6detail45device_block_merge_mergepath_partition_kernelINS1_37wrapped_merge_sort_block_merge_configINS0_14default_configElN2at4cuda3cub6detail10OpaqueTypeILi1EEEEEPljNS1_19radix_merge_compareILb1ELb1ElNS0_19identity_decomposerEEEEEvT0_T1_jPSH_T2_SH_,comdat
	.protected	_ZN7rocprim17ROCPRIM_304000_NS6detail45device_block_merge_mergepath_partition_kernelINS1_37wrapped_merge_sort_block_merge_configINS0_14default_configElN2at4cuda3cub6detail10OpaqueTypeILi1EEEEEPljNS1_19radix_merge_compareILb1ELb1ElNS0_19identity_decomposerEEEEEvT0_T1_jPSH_T2_SH_ ; -- Begin function _ZN7rocprim17ROCPRIM_304000_NS6detail45device_block_merge_mergepath_partition_kernelINS1_37wrapped_merge_sort_block_merge_configINS0_14default_configElN2at4cuda3cub6detail10OpaqueTypeILi1EEEEEPljNS1_19radix_merge_compareILb1ELb1ElNS0_19identity_decomposerEEEEEvT0_T1_jPSH_T2_SH_
	.globl	_ZN7rocprim17ROCPRIM_304000_NS6detail45device_block_merge_mergepath_partition_kernelINS1_37wrapped_merge_sort_block_merge_configINS0_14default_configElN2at4cuda3cub6detail10OpaqueTypeILi1EEEEEPljNS1_19radix_merge_compareILb1ELb1ElNS0_19identity_decomposerEEEEEvT0_T1_jPSH_T2_SH_
	.p2align	8
	.type	_ZN7rocprim17ROCPRIM_304000_NS6detail45device_block_merge_mergepath_partition_kernelINS1_37wrapped_merge_sort_block_merge_configINS0_14default_configElN2at4cuda3cub6detail10OpaqueTypeILi1EEEEEPljNS1_19radix_merge_compareILb1ELb1ElNS0_19identity_decomposerEEEEEvT0_T1_jPSH_T2_SH_,@function
_ZN7rocprim17ROCPRIM_304000_NS6detail45device_block_merge_mergepath_partition_kernelINS1_37wrapped_merge_sort_block_merge_configINS0_14default_configElN2at4cuda3cub6detail10OpaqueTypeILi1EEEEEPljNS1_19radix_merge_compareILb1ELb1ElNS0_19identity_decomposerEEEEEvT0_T1_jPSH_T2_SH_: ; @_ZN7rocprim17ROCPRIM_304000_NS6detail45device_block_merge_mergepath_partition_kernelINS1_37wrapped_merge_sort_block_merge_configINS0_14default_configElN2at4cuda3cub6detail10OpaqueTypeILi1EEEEEPljNS1_19radix_merge_compareILb1ELb1ElNS0_19identity_decomposerEEEEEvT0_T1_jPSH_T2_SH_
; %bb.0:
	s_load_b64 s[2:3], s[0:1], 0x8
	v_lshl_or_b32 v0, s15, 7, v0
	s_waitcnt lgkmcnt(0)
	s_delay_alu instid0(VALU_DEP_1)
	v_cmp_gt_u32_e32 vcc_lo, s3, v0
	s_and_saveexec_b32 s3, vcc_lo
	s_cbranch_execz .LBB7_6
; %bb.1:
	s_load_b32 s3, s[0:1], 0x20
	s_waitcnt lgkmcnt(0)
	s_lshr_b32 s4, s3, 9
	s_delay_alu instid0(SALU_CYCLE_1) | instskip(NEXT) | instid1(SALU_CYCLE_1)
	s_and_b32 s4, s4, 0x7ffffe
	s_sub_i32 s5, 0, s4
	s_add_i32 s4, s4, -1
	v_and_b32_e32 v1, s5, v0
	v_and_b32_e32 v5, s4, v0
	s_load_b128 s[4:7], s[0:1], 0x10
	s_delay_alu instid0(VALU_DEP_2) | instskip(NEXT) | instid1(VALU_DEP_1)
	v_lshlrev_b32_e32 v1, 10, v1
	v_add_nc_u32_e32 v2, s3, v1
	s_delay_alu instid0(VALU_DEP_1) | instskip(SKIP_1) | instid1(VALU_DEP_2)
	v_min_u32_e32 v4, s2, v2
	v_min_u32_e32 v2, s2, v1
	v_add_nc_u32_e32 v3, s3, v4
	s_delay_alu instid0(VALU_DEP_1) | instskip(SKIP_2) | instid1(VALU_DEP_2)
	v_min_u32_e32 v1, s2, v3
	v_lshlrev_b32_e32 v3, 10, v5
	s_mov_b32 s2, exec_lo
	v_sub_nc_u32_e32 v5, v1, v2
	v_sub_nc_u32_e32 v6, v1, v4
	s_delay_alu instid0(VALU_DEP_2) | instskip(SKIP_1) | instid1(VALU_DEP_2)
	v_min_u32_e32 v1, v5, v3
	v_sub_nc_u32_e32 v3, v4, v2
	v_sub_nc_u32_e64 v6, v1, v6 clamp
	s_delay_alu instid0(VALU_DEP_2) | instskip(NEXT) | instid1(VALU_DEP_1)
	v_min_u32_e32 v7, v1, v3
	v_cmpx_lt_u32_e64 v6, v7
	s_cbranch_execz .LBB7_5
; %bb.2:
	s_load_b64 s[0:1], s[0:1], 0x0
	v_mov_b32_e32 v5, 0
	s_delay_alu instid0(VALU_DEP_1) | instskip(SKIP_1) | instid1(VALU_DEP_2)
	v_mov_b32_e32 v3, v5
	v_lshlrev_b64 v[10:11], 3, v[4:5]
	v_lshlrev_b64 v[8:9], 3, v[2:3]
	s_waitcnt lgkmcnt(0)
	s_delay_alu instid0(VALU_DEP_1) | instskip(NEXT) | instid1(VALU_DEP_2)
	v_add_co_u32 v3, vcc_lo, s0, v8
	v_add_co_ci_u32_e32 v8, vcc_lo, s1, v9, vcc_lo
	s_delay_alu instid0(VALU_DEP_4)
	v_add_co_u32 v9, vcc_lo, s0, v10
	v_add_co_ci_u32_e32 v10, vcc_lo, s1, v11, vcc_lo
	s_mov_b32 s0, 0
	.p2align	6
.LBB7_3:                                ; =>This Inner Loop Header: Depth=1
	v_add_nc_u32_e32 v4, v7, v6
	v_mov_b32_e32 v12, v5
	s_delay_alu instid0(VALU_DEP_2) | instskip(NEXT) | instid1(VALU_DEP_1)
	v_lshrrev_b32_e32 v4, 1, v4
	v_xad_u32 v11, v4, -1, v1
	v_lshlrev_b64 v[13:14], 3, v[4:5]
	s_delay_alu instid0(VALU_DEP_2) | instskip(NEXT) | instid1(VALU_DEP_2)
	v_lshlrev_b64 v[11:12], 3, v[11:12]
	v_add_co_u32 v13, vcc_lo, v3, v13
	s_delay_alu instid0(VALU_DEP_3) | instskip(NEXT) | instid1(VALU_DEP_3)
	v_add_co_ci_u32_e32 v14, vcc_lo, v8, v14, vcc_lo
	v_add_co_u32 v11, vcc_lo, v9, v11
	s_delay_alu instid0(VALU_DEP_4)
	v_add_co_ci_u32_e32 v12, vcc_lo, v10, v12, vcc_lo
	s_clause 0x1
	global_load_b64 v[13:14], v[13:14], off
	global_load_b64 v[11:12], v[11:12], off
	s_waitcnt vmcnt(1)
	v_and_b32_e32 v13, s6, v13
	v_and_b32_e32 v14, s7, v14
	s_waitcnt vmcnt(0)
	v_and_b32_e32 v12, s7, v12
	v_and_b32_e32 v11, s6, v11
	s_delay_alu instid0(VALU_DEP_1) | instskip(SKIP_2) | instid1(VALU_DEP_2)
	v_cmp_gt_i64_e32 vcc_lo, v[11:12], v[13:14]
	v_add_nc_u32_e32 v11, 1, v4
	v_cndmask_b32_e32 v7, v7, v4, vcc_lo
	v_cndmask_b32_e32 v6, v11, v6, vcc_lo
	s_delay_alu instid0(VALU_DEP_1) | instskip(SKIP_1) | instid1(SALU_CYCLE_1)
	v_cmp_ge_u32_e32 vcc_lo, v6, v7
	s_or_b32 s0, vcc_lo, s0
	s_and_not1_b32 exec_lo, exec_lo, s0
	s_cbranch_execnz .LBB7_3
; %bb.4:
	s_or_b32 exec_lo, exec_lo, s0
.LBB7_5:
	s_delay_alu instid0(SALU_CYCLE_1) | instskip(SKIP_1) | instid1(VALU_DEP_1)
	s_or_b32 exec_lo, exec_lo, s2
	v_dual_mov_b32 v1, 0 :: v_dual_add_nc_u32 v2, v6, v2
	v_lshlrev_b64 v[0:1], 2, v[0:1]
	s_waitcnt lgkmcnt(0)
	s_delay_alu instid0(VALU_DEP_1) | instskip(NEXT) | instid1(VALU_DEP_2)
	v_add_co_u32 v0, vcc_lo, s4, v0
	v_add_co_ci_u32_e32 v1, vcc_lo, s5, v1, vcc_lo
	global_store_b32 v[0:1], v2, off
.LBB7_6:
	s_nop 0
	s_sendmsg sendmsg(MSG_DEALLOC_VGPRS)
	s_endpgm
	.section	.rodata,"a",@progbits
	.p2align	6, 0x0
	.amdhsa_kernel _ZN7rocprim17ROCPRIM_304000_NS6detail45device_block_merge_mergepath_partition_kernelINS1_37wrapped_merge_sort_block_merge_configINS0_14default_configElN2at4cuda3cub6detail10OpaqueTypeILi1EEEEEPljNS1_19radix_merge_compareILb1ELb1ElNS0_19identity_decomposerEEEEEvT0_T1_jPSH_T2_SH_
		.amdhsa_group_segment_fixed_size 0
		.amdhsa_private_segment_fixed_size 0
		.amdhsa_kernarg_size 36
		.amdhsa_user_sgpr_count 15
		.amdhsa_user_sgpr_dispatch_ptr 0
		.amdhsa_user_sgpr_queue_ptr 0
		.amdhsa_user_sgpr_kernarg_segment_ptr 1
		.amdhsa_user_sgpr_dispatch_id 0
		.amdhsa_user_sgpr_private_segment_size 0
		.amdhsa_wavefront_size32 1
		.amdhsa_uses_dynamic_stack 0
		.amdhsa_enable_private_segment 0
		.amdhsa_system_sgpr_workgroup_id_x 1
		.amdhsa_system_sgpr_workgroup_id_y 0
		.amdhsa_system_sgpr_workgroup_id_z 0
		.amdhsa_system_sgpr_workgroup_info 0
		.amdhsa_system_vgpr_workitem_id 0
		.amdhsa_next_free_vgpr 15
		.amdhsa_next_free_sgpr 16
		.amdhsa_reserve_vcc 1
		.amdhsa_float_round_mode_32 0
		.amdhsa_float_round_mode_16_64 0
		.amdhsa_float_denorm_mode_32 3
		.amdhsa_float_denorm_mode_16_64 3
		.amdhsa_dx10_clamp 1
		.amdhsa_ieee_mode 1
		.amdhsa_fp16_overflow 0
		.amdhsa_workgroup_processor_mode 1
		.amdhsa_memory_ordered 1
		.amdhsa_forward_progress 0
		.amdhsa_shared_vgpr_count 0
		.amdhsa_exception_fp_ieee_invalid_op 0
		.amdhsa_exception_fp_denorm_src 0
		.amdhsa_exception_fp_ieee_div_zero 0
		.amdhsa_exception_fp_ieee_overflow 0
		.amdhsa_exception_fp_ieee_underflow 0
		.amdhsa_exception_fp_ieee_inexact 0
		.amdhsa_exception_int_div_zero 0
	.end_amdhsa_kernel
	.section	.text._ZN7rocprim17ROCPRIM_304000_NS6detail45device_block_merge_mergepath_partition_kernelINS1_37wrapped_merge_sort_block_merge_configINS0_14default_configElN2at4cuda3cub6detail10OpaqueTypeILi1EEEEEPljNS1_19radix_merge_compareILb1ELb1ElNS0_19identity_decomposerEEEEEvT0_T1_jPSH_T2_SH_,"axG",@progbits,_ZN7rocprim17ROCPRIM_304000_NS6detail45device_block_merge_mergepath_partition_kernelINS1_37wrapped_merge_sort_block_merge_configINS0_14default_configElN2at4cuda3cub6detail10OpaqueTypeILi1EEEEEPljNS1_19radix_merge_compareILb1ELb1ElNS0_19identity_decomposerEEEEEvT0_T1_jPSH_T2_SH_,comdat
.Lfunc_end7:
	.size	_ZN7rocprim17ROCPRIM_304000_NS6detail45device_block_merge_mergepath_partition_kernelINS1_37wrapped_merge_sort_block_merge_configINS0_14default_configElN2at4cuda3cub6detail10OpaqueTypeILi1EEEEEPljNS1_19radix_merge_compareILb1ELb1ElNS0_19identity_decomposerEEEEEvT0_T1_jPSH_T2_SH_, .Lfunc_end7-_ZN7rocprim17ROCPRIM_304000_NS6detail45device_block_merge_mergepath_partition_kernelINS1_37wrapped_merge_sort_block_merge_configINS0_14default_configElN2at4cuda3cub6detail10OpaqueTypeILi1EEEEEPljNS1_19radix_merge_compareILb1ELb1ElNS0_19identity_decomposerEEEEEvT0_T1_jPSH_T2_SH_
                                        ; -- End function
	.section	.AMDGPU.csdata,"",@progbits
; Kernel info:
; codeLenInByte = 484
; NumSgprs: 18
; NumVgprs: 15
; ScratchSize: 0
; MemoryBound: 0
; FloatMode: 240
; IeeeMode: 1
; LDSByteSize: 0 bytes/workgroup (compile time only)
; SGPRBlocks: 2
; VGPRBlocks: 1
; NumSGPRsForWavesPerEU: 18
; NumVGPRsForWavesPerEU: 15
; Occupancy: 16
; WaveLimiterHint : 0
; COMPUTE_PGM_RSRC2:SCRATCH_EN: 0
; COMPUTE_PGM_RSRC2:USER_SGPR: 15
; COMPUTE_PGM_RSRC2:TRAP_HANDLER: 0
; COMPUTE_PGM_RSRC2:TGID_X_EN: 1
; COMPUTE_PGM_RSRC2:TGID_Y_EN: 0
; COMPUTE_PGM_RSRC2:TGID_Z_EN: 0
; COMPUTE_PGM_RSRC2:TIDIG_COMP_CNT: 0
	.section	.text._ZN7rocprim17ROCPRIM_304000_NS6detail35device_block_merge_mergepath_kernelINS1_37wrapped_merge_sort_block_merge_configINS0_14default_configElN2at4cuda3cub6detail10OpaqueTypeILi1EEEEEPlSC_PSA_SD_jNS1_19radix_merge_compareILb1ELb1ElNS0_19identity_decomposerEEEEEvT0_T1_T2_T3_T4_SL_jT5_PKSL_NS1_7vsmem_tE,"axG",@progbits,_ZN7rocprim17ROCPRIM_304000_NS6detail35device_block_merge_mergepath_kernelINS1_37wrapped_merge_sort_block_merge_configINS0_14default_configElN2at4cuda3cub6detail10OpaqueTypeILi1EEEEEPlSC_PSA_SD_jNS1_19radix_merge_compareILb1ELb1ElNS0_19identity_decomposerEEEEEvT0_T1_T2_T3_T4_SL_jT5_PKSL_NS1_7vsmem_tE,comdat
	.protected	_ZN7rocprim17ROCPRIM_304000_NS6detail35device_block_merge_mergepath_kernelINS1_37wrapped_merge_sort_block_merge_configINS0_14default_configElN2at4cuda3cub6detail10OpaqueTypeILi1EEEEEPlSC_PSA_SD_jNS1_19radix_merge_compareILb1ELb1ElNS0_19identity_decomposerEEEEEvT0_T1_T2_T3_T4_SL_jT5_PKSL_NS1_7vsmem_tE ; -- Begin function _ZN7rocprim17ROCPRIM_304000_NS6detail35device_block_merge_mergepath_kernelINS1_37wrapped_merge_sort_block_merge_configINS0_14default_configElN2at4cuda3cub6detail10OpaqueTypeILi1EEEEEPlSC_PSA_SD_jNS1_19radix_merge_compareILb1ELb1ElNS0_19identity_decomposerEEEEEvT0_T1_T2_T3_T4_SL_jT5_PKSL_NS1_7vsmem_tE
	.globl	_ZN7rocprim17ROCPRIM_304000_NS6detail35device_block_merge_mergepath_kernelINS1_37wrapped_merge_sort_block_merge_configINS0_14default_configElN2at4cuda3cub6detail10OpaqueTypeILi1EEEEEPlSC_PSA_SD_jNS1_19radix_merge_compareILb1ELb1ElNS0_19identity_decomposerEEEEEvT0_T1_T2_T3_T4_SL_jT5_PKSL_NS1_7vsmem_tE
	.p2align	8
	.type	_ZN7rocprim17ROCPRIM_304000_NS6detail35device_block_merge_mergepath_kernelINS1_37wrapped_merge_sort_block_merge_configINS0_14default_configElN2at4cuda3cub6detail10OpaqueTypeILi1EEEEEPlSC_PSA_SD_jNS1_19radix_merge_compareILb1ELb1ElNS0_19identity_decomposerEEEEEvT0_T1_T2_T3_T4_SL_jT5_PKSL_NS1_7vsmem_tE,@function
_ZN7rocprim17ROCPRIM_304000_NS6detail35device_block_merge_mergepath_kernelINS1_37wrapped_merge_sort_block_merge_configINS0_14default_configElN2at4cuda3cub6detail10OpaqueTypeILi1EEEEEPlSC_PSA_SD_jNS1_19radix_merge_compareILb1ELb1ElNS0_19identity_decomposerEEEEEvT0_T1_T2_T3_T4_SL_jT5_PKSL_NS1_7vsmem_tE: ; @_ZN7rocprim17ROCPRIM_304000_NS6detail35device_block_merge_mergepath_kernelINS1_37wrapped_merge_sort_block_merge_configINS0_14default_configElN2at4cuda3cub6detail10OpaqueTypeILi1EEEEEPlSC_PSA_SD_jNS1_19radix_merge_compareILb1ELb1ElNS0_19identity_decomposerEEEEEvT0_T1_T2_T3_T4_SL_jT5_PKSL_NS1_7vsmem_tE
; %bb.0:
	s_clause 0x1
	s_load_b64 s[26:27], s[0:1], 0x48
	s_load_b128 s[16:19], s[0:1], 0x20
	s_add_u32 s24, s0, 0x48
	s_addc_u32 s25, s1, 0
	s_waitcnt lgkmcnt(0)
	s_mul_i32 s2, s27, s15
	s_delay_alu instid0(SALU_CYCLE_1) | instskip(NEXT) | instid1(SALU_CYCLE_1)
	s_add_i32 s2, s2, s14
	s_mul_i32 s2, s2, s26
	s_delay_alu instid0(SALU_CYCLE_1) | instskip(NEXT) | instid1(SALU_CYCLE_1)
	s_add_i32 s2, s2, s13
	s_cmp_ge_u32 s2, s18
	s_cbranch_scc1 .LBB8_53
; %bb.1:
	s_load_b128 s[20:23], s[0:1], 0x30
	s_lshr_b32 s29, s16, 10
	s_mov_b32 s15, 0
	s_cmp_lg_u32 s2, s29
	s_mov_b32 s3, s15
	s_cselect_b32 s27, -1, 0
	s_lshl_b64 s[4:5], s[2:3], 2
	v_mov_b32_e32 v2, 0
	s_mov_b32 s19, s15
	v_lshlrev_b32_e32 v9, 3, v0
	s_waitcnt lgkmcnt(0)
	s_add_u32 s4, s22, s4
	s_addc_u32 s5, s23, s5
	s_lshl_b32 s12, s2, 10
	s_load_b64 s[22:23], s[4:5], 0x0
	s_load_b256 s[4:11], s[0:1], 0x0
	global_load_b32 v1, v2, s[24:25] offset:14
	s_lshr_b32 s0, s17, 9
	s_delay_alu instid0(SALU_CYCLE_1) | instskip(NEXT) | instid1(SALU_CYCLE_1)
	s_and_b32 s0, s0, 0x7ffffe
	s_sub_i32 s0, 0, s0
	s_delay_alu instid0(SALU_CYCLE_1)
	s_and_b32 s1, s2, s0
	s_or_b32 s0, s2, s0
	s_lshl_b32 s3, s1, 11
	s_lshl_b32 s1, s1, 10
	s_add_i32 s3, s3, s17
	s_sub_i32 s14, s12, s1
	s_sub_i32 s1, s3, s1
	s_add_i32 s3, s3, s14
	s_min_u32 s28, s16, s1
	s_add_i32 s1, s1, s17
	s_waitcnt lgkmcnt(0)
	s_sub_i32 s14, s3, s22
	s_sub_i32 s3, s3, s23
	s_min_u32 s18, s16, s14
	s_addk_i32 s3, 0x400
	s_cmp_eq_u32 s0, -1
	s_mov_b32 s14, s22
	s_cselect_b32 s3, s1, s3
	s_cselect_b32 s17, s28, s23
	s_min_u32 s3, s3, s16
	s_lshl_b64 s[0:1], s[14:15], 3
	s_sub_i32 s17, s17, s22
	s_sub_i32 s22, s3, s18
	s_add_u32 s23, s4, s0
	s_addc_u32 s28, s5, s1
	s_lshl_b64 s[30:31], s[18:19], 3
	v_cmp_gt_u32_e32 vcc_lo, s17, v0
	s_add_u32 s1, s4, s30
	s_addc_u32 s4, s5, s31
	s_cmp_lt_u32 s13, s26
	s_cselect_b32 s0, 12, 18
	s_delay_alu instid0(SALU_CYCLE_1)
	s_add_u32 s24, s24, s0
	s_addc_u32 s25, s25, 0
	s_cmp_eq_u32 s2, s29
	s_mov_b32 s0, -1
	s_waitcnt vmcnt(0)
	v_lshrrev_b32_e32 v4, 16, v1
	v_and_b32_e32 v1, 0xffff, v1
	global_load_u16 v3, v2, s[24:25]
	v_mul_lo_u32 v1, v1, v4
	s_waitcnt vmcnt(0)
	s_delay_alu instid0(VALU_DEP_1) | instskip(NEXT) | instid1(VALU_DEP_1)
	v_mul_lo_u32 v1, v1, v3
	v_add_nc_u32_e32 v7, v1, v0
	s_cbranch_scc1 .LBB8_3
; %bb.2:
	v_subrev_nc_u32_e32 v1, s17, v0
	v_add_co_u32 v10, s0, s23, v9
	s_delay_alu instid0(VALU_DEP_1) | instskip(NEXT) | instid1(VALU_DEP_3)
	v_add_co_ci_u32_e64 v11, null, s28, 0, s0
	v_lshlrev_b64 v[3:4], 3, v[1:2]
	v_subrev_nc_u32_e32 v1, s17, v7
	s_add_i32 s3, s22, s17
	s_delay_alu instid0(VALU_DEP_2) | instskip(SKIP_1) | instid1(VALU_DEP_3)
	v_add_co_u32 v3, s0, s1, v3
	v_mov_b32_e32 v8, v2
	v_lshlrev_b64 v[1:2], 3, v[1:2]
	v_add_co_ci_u32_e64 v4, s0, s4, v4, s0
	s_delay_alu instid0(VALU_DEP_3) | instskip(NEXT) | instid1(VALU_DEP_1)
	v_lshlrev_b64 v[5:6], 3, v[7:8]
	v_add_co_u32 v5, s0, s23, v5
	s_delay_alu instid0(VALU_DEP_1)
	v_add_co_ci_u32_e64 v6, s0, s28, v6, s0
	v_add_co_u32 v8, s0, s1, v1
	v_cndmask_b32_e32 v1, v3, v10, vcc_lo
	v_add_co_ci_u32_e64 v12, s0, s4, v2, s0
	v_cmp_gt_u32_e64 s0, s17, v7
	v_cndmask_b32_e32 v2, v4, v11, vcc_lo
	s_delay_alu instid0(VALU_DEP_2) | instskip(SKIP_4) | instid1(SALU_CYCLE_1)
	v_cndmask_b32_e64 v4, v12, v6, s0
	v_cndmask_b32_e64 v3, v8, v5, s0
	global_load_b64 v[1:2], v[1:2], off
	global_load_b64 v[5:6], v[3:4], off
	s_mov_b32 s0, s15
	s_and_not1_b32 vcc_lo, exec_lo, s0
	s_cbranch_vccz .LBB8_4
	s_branch .LBB8_9
.LBB8_3:
                                        ; implicit-def: $vgpr5_vgpr6
                                        ; implicit-def: $sgpr3
                                        ; implicit-def: $vgpr1_vgpr2_vgpr3_vgpr4
	s_and_not1_b32 vcc_lo, exec_lo, s0
	s_cbranch_vccnz .LBB8_9
.LBB8_4:
	s_add_i32 s3, s22, s17
	s_mov_b32 s0, exec_lo
                                        ; implicit-def: $vgpr1_vgpr2
	v_cmpx_gt_u32_e64 s3, v0
	s_cbranch_execz .LBB8_6
; %bb.5:
	s_waitcnt vmcnt(1)
	v_subrev_nc_u32_e32 v1, s17, v0
	v_add_co_u32 v3, s2, s23, v9
	v_mov_b32_e32 v2, 0
	v_add_co_ci_u32_e64 v4, null, s28, 0, s2
	s_delay_alu instid0(VALU_DEP_2) | instskip(NEXT) | instid1(VALU_DEP_1)
	v_lshlrev_b64 v[1:2], 3, v[1:2]
	v_add_co_u32 v1, vcc_lo, s1, v1
	s_delay_alu instid0(VALU_DEP_2) | instskip(SKIP_1) | instid1(VALU_DEP_2)
	v_add_co_ci_u32_e32 v2, vcc_lo, s4, v2, vcc_lo
	v_cmp_gt_u32_e32 vcc_lo, s17, v0
	v_dual_cndmask_b32 v1, v1, v3 :: v_dual_cndmask_b32 v2, v2, v4
	global_load_b64 v[1:2], v[1:2], off
.LBB8_6:
	s_or_b32 exec_lo, exec_lo, s0
	s_delay_alu instid0(SALU_CYCLE_1)
	s_mov_b32 s2, exec_lo
	v_cmpx_gt_u32_e64 s3, v7
                                        ; implicit-def: $vgpr3_vgpr4_vgpr5_vgpr6
	s_cbranch_execz .LBB8_8
; %bb.7:
	v_mov_b32_e32 v8, 0
	s_delay_alu instid0(VALU_DEP_1) | instskip(SKIP_1) | instid1(VALU_DEP_1)
	v_lshlrev_b64 v[3:4], 3, v[7:8]
	s_waitcnt vmcnt(0)
	v_add_co_u32 v5, vcc_lo, s23, v3
	s_delay_alu instid0(VALU_DEP_2) | instskip(SKIP_2) | instid1(VALU_DEP_1)
	v_add_co_ci_u32_e32 v6, vcc_lo, s28, v4, vcc_lo
	v_cmp_gt_u32_e32 vcc_lo, s17, v7
	v_subrev_nc_u32_e32 v7, s17, v7
	v_lshlrev_b64 v[3:4], 3, v[7:8]
	s_delay_alu instid0(VALU_DEP_1) | instskip(NEXT) | instid1(VALU_DEP_1)
	v_add_co_u32 v3, s0, s1, v3
	v_add_co_ci_u32_e64 v4, s0, s4, v4, s0
	s_delay_alu instid0(VALU_DEP_1)
	v_dual_cndmask_b32 v3, v3, v5 :: v_dual_cndmask_b32 v4, v4, v6
	global_load_b64 v[5:6], v[3:4], off
.LBB8_8:
	s_or_b32 exec_lo, exec_lo, s2
.LBB8_9:
	v_lshlrev_b32_e32 v7, 1, v0
	s_mov_b32 s0, exec_lo
	s_waitcnt vmcnt(0)
	ds_store_2addr_stride64_b64 v9, v[1:2], v[5:6] offset1:8
	s_waitcnt lgkmcnt(0)
	s_barrier
	v_min_u32_e32 v3, s3, v7
	buffer_gl0_inv
	v_sub_nc_u32_e64 v8, v3, s22 clamp
	v_min_u32_e32 v4, s17, v3
	s_delay_alu instid0(VALU_DEP_1)
	v_cmpx_lt_u32_e64 v8, v4
	s_cbranch_execz .LBB8_13
; %bb.10:
	v_lshlrev_b32_e32 v10, 3, v3
	s_mov_b32 s1, 0
	s_delay_alu instid0(VALU_DEP_1)
	v_lshl_add_u32 v10, s17, 3, v10
	.p2align	6
.LBB8_11:                               ; =>This Inner Loop Header: Depth=1
	v_add_nc_u32_e32 v11, v4, v8
	s_delay_alu instid0(VALU_DEP_1) | instskip(NEXT) | instid1(VALU_DEP_1)
	v_lshrrev_b32_e32 v15, 1, v11
	v_not_b32_e32 v11, v15
	v_lshlrev_b32_e32 v12, 3, v15
	s_delay_alu instid0(VALU_DEP_2)
	v_lshl_add_u32 v13, v11, 3, v10
	ds_load_b64 v[11:12], v12
	ds_load_b64 v[13:14], v13
	s_waitcnt lgkmcnt(1)
	v_and_b32_e32 v12, s21, v12
	v_and_b32_e32 v11, s20, v11
	s_waitcnt lgkmcnt(0)
	v_and_b32_e32 v14, s21, v14
	v_and_b32_e32 v13, s20, v13
	s_delay_alu instid0(VALU_DEP_1) | instskip(SKIP_2) | instid1(VALU_DEP_2)
	v_cmp_gt_i64_e32 vcc_lo, v[13:14], v[11:12]
	v_add_nc_u32_e32 v11, 1, v15
	v_cndmask_b32_e32 v4, v4, v15, vcc_lo
	v_cndmask_b32_e32 v8, v11, v8, vcc_lo
	s_delay_alu instid0(VALU_DEP_1) | instskip(SKIP_1) | instid1(SALU_CYCLE_1)
	v_cmp_ge_u32_e32 vcc_lo, v8, v4
	s_or_b32 s1, vcc_lo, s1
	s_and_not1_b32 exec_lo, exec_lo, s1
	s_cbranch_execnz .LBB8_11
; %bb.12:
	s_or_b32 exec_lo, exec_lo, s1
.LBB8_13:
	s_delay_alu instid0(SALU_CYCLE_1) | instskip(SKIP_2) | instid1(VALU_DEP_2)
	s_or_b32 exec_lo, exec_lo, s0
	v_sub_nc_u32_e32 v3, v3, v8
	v_cmp_ge_u32_e32 vcc_lo, s17, v8
                                        ; implicit-def: $vgpr10
                                        ; implicit-def: $vgpr11
	v_add_nc_u32_e32 v12, s17, v3
	s_delay_alu instid0(VALU_DEP_1) | instskip(NEXT) | instid1(VALU_DEP_1)
	v_cmp_ge_u32_e64 s0, s3, v12
	s_or_b32 s0, vcc_lo, s0
	s_delay_alu instid0(SALU_CYCLE_1)
	s_and_saveexec_b32 s4, s0
	s_cbranch_execz .LBB8_19
; %bb.14:
	v_cmp_gt_u32_e32 vcc_lo, s17, v8
                                        ; implicit-def: $vgpr1_vgpr2
	s_and_saveexec_b32 s0, vcc_lo
	s_cbranch_execz .LBB8_16
; %bb.15:
	v_lshlrev_b32_e32 v1, 3, v8
	ds_load_b64 v[1:2], v1
.LBB8_16:
	s_or_b32 exec_lo, exec_lo, s0
	v_cmp_le_u32_e64 s0, s3, v12
	s_mov_b32 s2, exec_lo
                                        ; implicit-def: $vgpr3_vgpr4
	v_cmpx_gt_u32_e64 s3, v12
	s_cbranch_execz .LBB8_18
; %bb.17:
	v_lshlrev_b32_e32 v3, 3, v12
	ds_load_b64 v[3:4], v3
.LBB8_18:
	s_or_b32 exec_lo, exec_lo, s2
	s_waitcnt lgkmcnt(0)
	v_and_b32_e32 v6, s21, v4
	v_and_b32_e32 v5, s20, v3
	;; [unrolled: 1-line block ×4, first 2 shown]
	s_delay_alu instid0(VALU_DEP_1) | instskip(SKIP_1) | instid1(VALU_DEP_2)
	v_cmp_le_i64_e64 s1, v[5:6], v[10:11]
	v_mov_b32_e32 v5, s17
	s_and_b32 s1, vcc_lo, s1
	s_delay_alu instid0(SALU_CYCLE_1) | instskip(SKIP_1) | instid1(VALU_DEP_1)
	s_or_b32 vcc_lo, s0, s1
	v_cndmask_b32_e32 v11, v12, v8, vcc_lo
	v_dual_cndmask_b32 v5, s3, v5 :: v_dual_add_nc_u32 v10, 1, v11
	s_delay_alu instid0(VALU_DEP_1) | instskip(NEXT) | instid1(VALU_DEP_1)
	v_dual_cndmask_b32 v8, v8, v10 :: v_dual_add_nc_u32 v5, -1, v5
	v_min_u32_e32 v5, v10, v5
	v_cndmask_b32_e32 v10, v10, v12, vcc_lo
	s_delay_alu instid0(VALU_DEP_3) | instskip(NEXT) | instid1(VALU_DEP_3)
	v_cmp_gt_u32_e64 s1, s17, v8
	v_lshlrev_b32_e32 v5, 3, v5
	s_delay_alu instid0(VALU_DEP_3)
	v_cmp_le_u32_e64 s2, s3, v10
	ds_load_b64 v[5:6], v5
	s_waitcnt lgkmcnt(0)
	v_dual_cndmask_b32 v15, v6, v4 :: v_dual_cndmask_b32 v18, v1, v5
	v_dual_cndmask_b32 v16, v5, v3 :: v_dual_cndmask_b32 v17, v2, v6
	v_cndmask_b32_e32 v2, v4, v2, vcc_lo
	s_delay_alu instid0(VALU_DEP_3) | instskip(NEXT) | instid1(VALU_DEP_4)
	v_and_b32_e32 v6, s21, v15
	v_and_b32_e32 v13, s20, v18
	s_delay_alu instid0(VALU_DEP_4) | instskip(SKIP_2) | instid1(VALU_DEP_2)
	v_and_b32_e32 v5, s20, v16
	v_and_b32_e32 v14, s21, v17
	v_cndmask_b32_e32 v1, v3, v1, vcc_lo
	v_cmp_le_i64_e64 s0, v[5:6], v[13:14]
	s_delay_alu instid0(VALU_DEP_1) | instskip(NEXT) | instid1(SALU_CYCLE_1)
	s_and_b32 s0, s1, s0
	s_or_b32 vcc_lo, s2, s0
	v_dual_cndmask_b32 v5, v16, v18 :: v_dual_cndmask_b32 v10, v10, v8
	v_cndmask_b32_e32 v6, v15, v17, vcc_lo
.LBB8_19:
	s_or_b32 exec_lo, exec_lo, s4
	s_add_u32 s4, s8, s14
	v_cmp_gt_u32_e64 s1, s17, v0
	v_cmp_le_u32_e64 s0, s17, v0
	v_or_b32_e32 v8, 0x200, v0
	s_addc_u32 s5, s9, 0
	s_add_u32 s8, s8, s18
	s_mov_b32 s2, 0
	s_addc_u32 s9, s9, 0
	s_and_not1_b32 vcc_lo, exec_lo, s27
	s_barrier
	buffer_gl0_inv
	s_cbranch_vccnz .LBB8_21
; %bb.20:
	v_subrev_nc_u32_e32 v3, s17, v0
	v_add_co_u32 v13, s2, s4, v0
	s_delay_alu instid0(VALU_DEP_1) | instskip(NEXT) | instid1(VALU_DEP_3)
	v_add_co_ci_u32_e64 v14, null, s5, 0, s2
	v_add_co_u32 v3, s2, s8, v3
	s_delay_alu instid0(VALU_DEP_1) | instskip(SKIP_1) | instid1(VALU_DEP_3)
	v_add_co_ci_u32_e64 v4, null, s9, 0, s2
	v_or_b32_e32 v12, 0x200, v0
	v_cndmask_b32_e64 v3, v3, v13, s1
	v_add_co_u32 v13, vcc_lo, 0x200, v13
	s_delay_alu instid0(VALU_DEP_4)
	v_cndmask_b32_e64 v4, v4, v14, s1
	s_mov_b32 s2, -1
	global_load_u8 v15, v[3:4], off
	v_subrev_nc_u32_e32 v3, s17, v12
	v_add_co_ci_u32_e32 v4, vcc_lo, 0, v14, vcc_lo
	v_cmp_gt_u32_e32 vcc_lo, s17, v12
	s_delay_alu instid0(VALU_DEP_3) | instskip(NEXT) | instid1(VALU_DEP_1)
	v_add_co_u32 v3, s1, s8, v3
	v_add_co_ci_u32_e64 v14, null, s9, 0, s1
	s_delay_alu instid0(VALU_DEP_1)
	v_dual_cndmask_b32 v3, v3, v13 :: v_dual_cndmask_b32 v4, v14, v4
	s_waitcnt vmcnt(0)
	ds_store_b8 v0, v15
	s_cbranch_execz .LBB8_22
	s_branch .LBB8_33
.LBB8_21:
                                        ; implicit-def: $vgpr12
                                        ; implicit-def: $vgpr3_vgpr4
.LBB8_22:
	s_mov_b32 s1, 0
                                        ; implicit-def: $vgpr3_vgpr4
	s_and_saveexec_b32 s13, s0
	s_delay_alu instid0(SALU_CYCLE_1)
	s_xor_b32 s0, exec_lo, s13
	s_cbranch_execnz .LBB8_54
; %bb.23:
	s_and_not1_saveexec_b32 s0, s0
	s_cbranch_execnz .LBB8_57
.LBB8_24:
	s_or_b32 exec_lo, exec_lo, s0
	s_and_saveexec_b32 s0, s1
	s_cbranch_execz .LBB8_26
.LBB8_25:
	global_load_u8 v3, v[3:4], off
	s_waitcnt vmcnt(0)
	ds_store_b8 v0, v3
.LBB8_26:
	s_or_b32 exec_lo, exec_lo, s0
	s_delay_alu instid0(SALU_CYCLE_1)
	s_mov_b32 s0, exec_lo
                                        ; implicit-def: $vgpr12
                                        ; implicit-def: $vgpr3_vgpr4
	v_cmpx_le_u32_e64 s17, v8
	s_xor_b32 s0, exec_lo, s0
	s_cbranch_execz .LBB8_30
; %bb.27:
	v_subrev_nc_u32_e32 v13, s17, v8
	s_mov_b32 s1, s2
	s_mov_b32 s13, exec_lo
                                        ; implicit-def: $vgpr12
                                        ; implicit-def: $vgpr3_vgpr4
	s_delay_alu instid0(VALU_DEP_1)
	v_cmpx_gt_u32_e64 s22, v13
; %bb.28:
	v_add_co_u32 v3, s1, s8, v13
	v_or_b32_e32 v12, 0x200, v0
	v_add_co_ci_u32_e64 v4, null, s9, 0, s1
	s_or_b32 s1, s2, exec_lo
; %bb.29:
	s_or_b32 exec_lo, exec_lo, s13
	s_delay_alu instid0(SALU_CYCLE_1) | instskip(SKIP_1) | instid1(SALU_CYCLE_1)
	s_and_not1_b32 s2, s2, exec_lo
	s_and_b32 s1, s1, exec_lo
	s_or_b32 s2, s2, s1
.LBB8_30:
	s_and_not1_saveexec_b32 s0, s0
; %bb.31:
	v_add_co_u32 v3, s1, s4, v0
	s_delay_alu instid0(VALU_DEP_1) | instskip(SKIP_1) | instid1(VALU_DEP_3)
	v_add_co_ci_u32_e64 v4, null, s5, 0, s1
	v_mov_b32_e32 v12, v8
	v_add_co_u32 v3, vcc_lo, 0x200, v3
	s_delay_alu instid0(VALU_DEP_3)
	v_add_co_ci_u32_e32 v4, vcc_lo, 0, v4, vcc_lo
	s_or_b32 s2, s2, exec_lo
; %bb.32:
	s_or_b32 exec_lo, exec_lo, s0
.LBB8_33:
	s_and_saveexec_b32 s0, s2
	s_cbranch_execz .LBB8_35
; %bb.34:
	global_load_u8 v3, v[3:4], off
	s_waitcnt vmcnt(0)
	ds_store_b8 v12, v3
.LBB8_35:
	s_or_b32 exec_lo, exec_lo, s0
	v_add_nc_u32_e32 v12, s12, v7
	s_and_not1_b32 vcc_lo, exec_lo, s27
	s_waitcnt lgkmcnt(0)
	s_barrier
	buffer_gl0_inv
	s_cbranch_vccnz .LBB8_37
; %bb.36:
	ds_load_u8 v3, v11
	v_mov_b32_e32 v4, 0
	s_mov_b32 s0, -1
	s_waitcnt lgkmcnt(0)
	global_store_b8 v12, v3, s[10:11]
	s_cbranch_execz .LBB8_38
	s_branch .LBB8_43
.LBB8_37:
	s_mov_b32 s0, 0
                                        ; implicit-def: $vgpr3_vgpr4
.LBB8_38:
	s_mov_b32 s1, exec_lo
	v_cmpx_gt_u32_e64 s3, v7
	s_cbranch_execz .LBB8_40
; %bb.39:
	ds_load_u8 v3, v11
	s_waitcnt lgkmcnt(0)
	global_store_b8 v12, v3, s[10:11]
.LBB8_40:
	s_or_b32 exec_lo, exec_lo, s1
	v_or_b32_e32 v3, 1, v7
	s_mov_b32 s1, exec_lo
	s_delay_alu instid0(VALU_DEP_1)
	v_cmpx_gt_u32_e64 s3, v3
                                        ; implicit-def: $vgpr3_vgpr4
; %bb.41:
	v_mov_b32_e32 v4, 0
	s_or_b32 s0, s0, exec_lo
; %bb.42:
	s_or_b32 exec_lo, exec_lo, s1
.LBB8_43:
	s_and_saveexec_b32 s1, s0
	s_cbranch_execz .LBB8_45
; %bb.44:
	ds_load_u8 v10, v10
	v_add_co_u32 v3, vcc_lo, s10, v12
	v_add_co_ci_u32_e32 v4, vcc_lo, s11, v4, vcc_lo
	s_waitcnt lgkmcnt(0)
	global_store_b8 v[3:4], v10, off offset:1
.LBB8_45:
	s_or_b32 exec_lo, exec_lo, s1
	v_lshrrev_b32_e32 v3, 1, v0
	v_lshrrev_b32_e32 v4, 2, v0
	;; [unrolled: 1-line block ×3, first 2 shown]
	s_mov_b32 s13, 0
	s_waitcnt_vscnt null, 0x0
	v_and_b32_e32 v3, 0xf8, v3
	s_lshl_b64 s[0:1], s[12:13], 3
	v_and_b32_e32 v4, 0x78, v4
	s_add_u32 s0, s6, s0
	s_barrier
	v_lshl_add_u32 v3, v7, 3, v3
	v_and_b32_e32 v7, 0xf8, v10
	buffer_gl0_inv
	s_barrier
	buffer_gl0_inv
	s_addc_u32 s1, s7, s1
	ds_store_2addr_b64 v3, v[1:2], v[5:6] offset1:1
	v_add_co_u32 v1, s0, s0, v9
	v_add_nc_u32_e32 v5, v9, v4
	v_add_nc_u32_e32 v6, v9, v7
	v_add_co_ci_u32_e64 v2, null, s1, 0, s0
	s_and_b32 vcc_lo, exec_lo, s27
	s_waitcnt lgkmcnt(0)
	s_cbranch_vccz .LBB8_47
; %bb.46:
	s_barrier
	buffer_gl0_inv
	ds_load_b64 v[9:10], v5
	ds_load_b64 v[3:4], v6 offset:4096
	s_mov_b32 s13, -1
	s_waitcnt lgkmcnt(1)
	global_store_b64 v[1:2], v[9:10], off
	s_cbranch_execz .LBB8_48
	s_branch .LBB8_51
.LBB8_47:
                                        ; implicit-def: $vgpr3_vgpr4
.LBB8_48:
	s_waitcnt lgkmcnt(0)
	s_waitcnt_vscnt null, 0x0
	s_barrier
	buffer_gl0_inv
	ds_load_b64 v[3:4], v6 offset:4096
	s_sub_i32 s0, s16, s12
	s_mov_b32 s1, exec_lo
	v_cmpx_gt_u32_e64 s0, v0
	s_cbranch_execz .LBB8_50
; %bb.49:
	ds_load_b64 v[5:6], v5
	s_waitcnt lgkmcnt(0)
	global_store_b64 v[1:2], v[5:6], off
.LBB8_50:
	s_or_b32 exec_lo, exec_lo, s1
	v_cmp_gt_u32_e64 s13, s0, v8
.LBB8_51:
	s_delay_alu instid0(VALU_DEP_1)
	s_and_saveexec_b32 s0, s13
	s_cbranch_execz .LBB8_53
; %bb.52:
	v_add_co_u32 v0, vcc_lo, 0x1000, v1
	v_add_co_ci_u32_e32 v1, vcc_lo, 0, v2, vcc_lo
	s_waitcnt lgkmcnt(0)
	global_store_b64 v[0:1], v[3:4], off
.LBB8_53:
	s_nop 0
	s_sendmsg sendmsg(MSG_DEALLOC_VGPRS)
	s_endpgm
.LBB8_54:
	v_subrev_nc_u32_e32 v12, s17, v0
	s_mov_b32 s13, exec_lo
                                        ; implicit-def: $vgpr3_vgpr4
	s_delay_alu instid0(VALU_DEP_1)
	v_cmpx_gt_u32_e64 s22, v12
	s_xor_b32 s13, exec_lo, s13
; %bb.55:
	v_add_co_u32 v3, s14, s8, v12
	s_mov_b32 s1, exec_lo
	v_add_co_ci_u32_e64 v4, null, s9, 0, s14
; %bb.56:
	s_or_b32 exec_lo, exec_lo, s13
	s_delay_alu instid0(SALU_CYCLE_1)
	s_and_b32 s1, s1, exec_lo
	s_and_not1_saveexec_b32 s0, s0
	s_cbranch_execz .LBB8_24
.LBB8_57:
	v_add_co_u32 v3, s13, s4, v0
	s_delay_alu instid0(VALU_DEP_1)
	v_add_co_ci_u32_e64 v4, null, s5, 0, s13
	s_or_b32 s1, s1, exec_lo
	s_or_b32 exec_lo, exec_lo, s0
	s_and_saveexec_b32 s0, s1
	s_cbranch_execnz .LBB8_25
	s_branch .LBB8_26
	.section	.rodata,"a",@progbits
	.p2align	6, 0x0
	.amdhsa_kernel _ZN7rocprim17ROCPRIM_304000_NS6detail35device_block_merge_mergepath_kernelINS1_37wrapped_merge_sort_block_merge_configINS0_14default_configElN2at4cuda3cub6detail10OpaqueTypeILi1EEEEEPlSC_PSA_SD_jNS1_19radix_merge_compareILb1ELb1ElNS0_19identity_decomposerEEEEEvT0_T1_T2_T3_T4_SL_jT5_PKSL_NS1_7vsmem_tE
		.amdhsa_group_segment_fixed_size 8448
		.amdhsa_private_segment_fixed_size 0
		.amdhsa_kernarg_size 328
		.amdhsa_user_sgpr_count 13
		.amdhsa_user_sgpr_dispatch_ptr 0
		.amdhsa_user_sgpr_queue_ptr 0
		.amdhsa_user_sgpr_kernarg_segment_ptr 1
		.amdhsa_user_sgpr_dispatch_id 0
		.amdhsa_user_sgpr_private_segment_size 0
		.amdhsa_wavefront_size32 1
		.amdhsa_uses_dynamic_stack 0
		.amdhsa_enable_private_segment 0
		.amdhsa_system_sgpr_workgroup_id_x 1
		.amdhsa_system_sgpr_workgroup_id_y 1
		.amdhsa_system_sgpr_workgroup_id_z 1
		.amdhsa_system_sgpr_workgroup_info 0
		.amdhsa_system_vgpr_workitem_id 0
		.amdhsa_next_free_vgpr 19
		.amdhsa_next_free_sgpr 32
		.amdhsa_reserve_vcc 1
		.amdhsa_float_round_mode_32 0
		.amdhsa_float_round_mode_16_64 0
		.amdhsa_float_denorm_mode_32 3
		.amdhsa_float_denorm_mode_16_64 3
		.amdhsa_dx10_clamp 1
		.amdhsa_ieee_mode 1
		.amdhsa_fp16_overflow 0
		.amdhsa_workgroup_processor_mode 1
		.amdhsa_memory_ordered 1
		.amdhsa_forward_progress 0
		.amdhsa_shared_vgpr_count 0
		.amdhsa_exception_fp_ieee_invalid_op 0
		.amdhsa_exception_fp_denorm_src 0
		.amdhsa_exception_fp_ieee_div_zero 0
		.amdhsa_exception_fp_ieee_overflow 0
		.amdhsa_exception_fp_ieee_underflow 0
		.amdhsa_exception_fp_ieee_inexact 0
		.amdhsa_exception_int_div_zero 0
	.end_amdhsa_kernel
	.section	.text._ZN7rocprim17ROCPRIM_304000_NS6detail35device_block_merge_mergepath_kernelINS1_37wrapped_merge_sort_block_merge_configINS0_14default_configElN2at4cuda3cub6detail10OpaqueTypeILi1EEEEEPlSC_PSA_SD_jNS1_19radix_merge_compareILb1ELb1ElNS0_19identity_decomposerEEEEEvT0_T1_T2_T3_T4_SL_jT5_PKSL_NS1_7vsmem_tE,"axG",@progbits,_ZN7rocprim17ROCPRIM_304000_NS6detail35device_block_merge_mergepath_kernelINS1_37wrapped_merge_sort_block_merge_configINS0_14default_configElN2at4cuda3cub6detail10OpaqueTypeILi1EEEEEPlSC_PSA_SD_jNS1_19radix_merge_compareILb1ELb1ElNS0_19identity_decomposerEEEEEvT0_T1_T2_T3_T4_SL_jT5_PKSL_NS1_7vsmem_tE,comdat
.Lfunc_end8:
	.size	_ZN7rocprim17ROCPRIM_304000_NS6detail35device_block_merge_mergepath_kernelINS1_37wrapped_merge_sort_block_merge_configINS0_14default_configElN2at4cuda3cub6detail10OpaqueTypeILi1EEEEEPlSC_PSA_SD_jNS1_19radix_merge_compareILb1ELb1ElNS0_19identity_decomposerEEEEEvT0_T1_T2_T3_T4_SL_jT5_PKSL_NS1_7vsmem_tE, .Lfunc_end8-_ZN7rocprim17ROCPRIM_304000_NS6detail35device_block_merge_mergepath_kernelINS1_37wrapped_merge_sort_block_merge_configINS0_14default_configElN2at4cuda3cub6detail10OpaqueTypeILi1EEEEEPlSC_PSA_SD_jNS1_19radix_merge_compareILb1ELb1ElNS0_19identity_decomposerEEEEEvT0_T1_T2_T3_T4_SL_jT5_PKSL_NS1_7vsmem_tE
                                        ; -- End function
	.section	.AMDGPU.csdata,"",@progbits
; Kernel info:
; codeLenInByte = 2388
; NumSgprs: 34
; NumVgprs: 19
; ScratchSize: 0
; MemoryBound: 0
; FloatMode: 240
; IeeeMode: 1
; LDSByteSize: 8448 bytes/workgroup (compile time only)
; SGPRBlocks: 4
; VGPRBlocks: 2
; NumSGPRsForWavesPerEU: 34
; NumVGPRsForWavesPerEU: 19
; Occupancy: 16
; WaveLimiterHint : 1
; COMPUTE_PGM_RSRC2:SCRATCH_EN: 0
; COMPUTE_PGM_RSRC2:USER_SGPR: 13
; COMPUTE_PGM_RSRC2:TRAP_HANDLER: 0
; COMPUTE_PGM_RSRC2:TGID_X_EN: 1
; COMPUTE_PGM_RSRC2:TGID_Y_EN: 1
; COMPUTE_PGM_RSRC2:TGID_Z_EN: 1
; COMPUTE_PGM_RSRC2:TIDIG_COMP_CNT: 0
	.section	.text._ZN7rocprim17ROCPRIM_304000_NS6detail33device_block_merge_oddeven_kernelINS1_37wrapped_merge_sort_block_merge_configINS0_14default_configElN2at4cuda3cub6detail10OpaqueTypeILi1EEEEEPlSC_PSA_SD_jNS1_19radix_merge_compareILb1ELb1ElNS0_19identity_decomposerEEEEEvT0_T1_T2_T3_T4_SL_T5_,"axG",@progbits,_ZN7rocprim17ROCPRIM_304000_NS6detail33device_block_merge_oddeven_kernelINS1_37wrapped_merge_sort_block_merge_configINS0_14default_configElN2at4cuda3cub6detail10OpaqueTypeILi1EEEEEPlSC_PSA_SD_jNS1_19radix_merge_compareILb1ELb1ElNS0_19identity_decomposerEEEEEvT0_T1_T2_T3_T4_SL_T5_,comdat
	.protected	_ZN7rocprim17ROCPRIM_304000_NS6detail33device_block_merge_oddeven_kernelINS1_37wrapped_merge_sort_block_merge_configINS0_14default_configElN2at4cuda3cub6detail10OpaqueTypeILi1EEEEEPlSC_PSA_SD_jNS1_19radix_merge_compareILb1ELb1ElNS0_19identity_decomposerEEEEEvT0_T1_T2_T3_T4_SL_T5_ ; -- Begin function _ZN7rocprim17ROCPRIM_304000_NS6detail33device_block_merge_oddeven_kernelINS1_37wrapped_merge_sort_block_merge_configINS0_14default_configElN2at4cuda3cub6detail10OpaqueTypeILi1EEEEEPlSC_PSA_SD_jNS1_19radix_merge_compareILb1ELb1ElNS0_19identity_decomposerEEEEEvT0_T1_T2_T3_T4_SL_T5_
	.globl	_ZN7rocprim17ROCPRIM_304000_NS6detail33device_block_merge_oddeven_kernelINS1_37wrapped_merge_sort_block_merge_configINS0_14default_configElN2at4cuda3cub6detail10OpaqueTypeILi1EEEEEPlSC_PSA_SD_jNS1_19radix_merge_compareILb1ELb1ElNS0_19identity_decomposerEEEEEvT0_T1_T2_T3_T4_SL_T5_
	.p2align	8
	.type	_ZN7rocprim17ROCPRIM_304000_NS6detail33device_block_merge_oddeven_kernelINS1_37wrapped_merge_sort_block_merge_configINS0_14default_configElN2at4cuda3cub6detail10OpaqueTypeILi1EEEEEPlSC_PSA_SD_jNS1_19radix_merge_compareILb1ELb1ElNS0_19identity_decomposerEEEEEvT0_T1_T2_T3_T4_SL_T5_,@function
_ZN7rocprim17ROCPRIM_304000_NS6detail33device_block_merge_oddeven_kernelINS1_37wrapped_merge_sort_block_merge_configINS0_14default_configElN2at4cuda3cub6detail10OpaqueTypeILi1EEEEEPlSC_PSA_SD_jNS1_19radix_merge_compareILb1ELb1ElNS0_19identity_decomposerEEEEEvT0_T1_T2_T3_T4_SL_T5_: ; @_ZN7rocprim17ROCPRIM_304000_NS6detail33device_block_merge_oddeven_kernelINS1_37wrapped_merge_sort_block_merge_configINS0_14default_configElN2at4cuda3cub6detail10OpaqueTypeILi1EEEEEPlSC_PSA_SD_jNS1_19radix_merge_compareILb1ELb1ElNS0_19identity_decomposerEEEEEvT0_T1_T2_T3_T4_SL_T5_
; %bb.0:
	s_load_b64 s[16:17], s[0:1], 0x20
	s_waitcnt lgkmcnt(0)
	s_lshr_b32 s2, s16, 8
	s_delay_alu instid0(SALU_CYCLE_1) | instskip(SKIP_4) | instid1(SALU_CYCLE_1)
	s_cmp_lg_u32 s15, s2
	s_cselect_b32 s4, -1, 0
	s_cmp_eq_u32 s15, s2
	s_cselect_b32 s14, -1, 0
	s_lshl_b32 s12, s15, 8
	s_sub_i32 s2, s16, s12
	s_delay_alu instid0(SALU_CYCLE_1) | instskip(NEXT) | instid1(VALU_DEP_1)
	v_cmp_gt_u32_e64 s3, s2, v0
	s_or_b32 s2, s4, s3
	s_delay_alu instid0(SALU_CYCLE_1)
	s_and_saveexec_b32 s4, s2
	s_cbranch_execz .LBB9_26
; %bb.1:
	s_load_b256 s[4:11], s[0:1], 0x0
	s_mov_b32 s13, 0
	v_lshlrev_b32_e32 v1, 3, v0
	s_lshl_b64 s[18:19], s[12:13], 3
	v_add_nc_u32_e32 v5, s12, v0
	s_waitcnt lgkmcnt(0)
	s_add_u32 s18, s4, s18
	s_addc_u32 s19, s5, s19
	s_add_u32 s8, s8, s12
	s_addc_u32 s9, s9, 0
	s_lshr_b32 s2, s17, 8
	global_load_u8 v7, v0, s[8:9]
	global_load_b64 v[1:2], v1, s[18:19]
	s_sub_i32 s8, 0, s2
	s_delay_alu instid0(SALU_CYCLE_1) | instskip(NEXT) | instid1(SALU_CYCLE_1)
	s_and_b32 s8, s15, s8
	s_and_b32 s2, s8, s2
	s_lshl_b32 s15, s8, 8
	s_sub_i32 s8, 0, s17
	s_cmp_eq_u32 s2, 0
	s_cselect_b32 s2, -1, 0
	s_delay_alu instid0(SALU_CYCLE_1) | instskip(SKIP_1) | instid1(SALU_CYCLE_1)
	s_and_b32 s9, s2, exec_lo
	s_cselect_b32 s8, s17, s8
	s_add_i32 s8, s8, s15
	s_delay_alu instid0(SALU_CYCLE_1)
	s_cmp_lt_u32 s8, s16
	s_cbranch_scc1 .LBB9_6
; %bb.2:
	s_and_b32 vcc_lo, exec_lo, s14
	s_cbranch_vccz .LBB9_7
; %bb.3:
	s_mov_b32 s9, 0
	s_mov_b32 s12, exec_lo
                                        ; implicit-def: $vgpr3_vgpr4
	v_cmpx_gt_u32_e64 s16, v5
	s_cbranch_execz .LBB9_5
; %bb.4:
	v_mov_b32_e32 v6, 0
	s_mov_b32 s13, exec_lo
	s_delay_alu instid0(VALU_DEP_1) | instskip(NEXT) | instid1(VALU_DEP_1)
	v_lshlrev_b64 v[3:4], 3, v[5:6]
	v_add_co_u32 v8, vcc_lo, s6, v3
	v_add_co_u32 v3, s18, s10, v5
	s_delay_alu instid0(VALU_DEP_3)
	v_add_co_ci_u32_e32 v9, vcc_lo, s7, v4, vcc_lo
	v_add_co_ci_u32_e64 v4, null, s11, 0, s18
	s_waitcnt vmcnt(0)
	global_store_b64 v[8:9], v[1:2], off
.LBB9_5:
	s_or_b32 exec_lo, exec_lo, s12
	s_delay_alu instid0(SALU_CYCLE_1)
	s_and_b32 vcc_lo, exec_lo, s9
	s_cbranch_vccnz .LBB9_8
	s_branch .LBB9_9
.LBB9_6:
                                        ; implicit-def: $vgpr3_vgpr4
	s_cbranch_execnz .LBB9_10
	s_branch .LBB9_24
.LBB9_7:
                                        ; implicit-def: $vgpr3_vgpr4
	s_cbranch_execz .LBB9_9
.LBB9_8:
	v_mov_b32_e32 v6, 0
	s_or_b32 s13, s13, exec_lo
	s_delay_alu instid0(VALU_DEP_1) | instskip(NEXT) | instid1(VALU_DEP_1)
	v_lshlrev_b64 v[3:4], 3, v[5:6]
	v_add_co_u32 v8, vcc_lo, s6, v3
	v_add_co_u32 v3, s9, s10, v5
	s_delay_alu instid0(VALU_DEP_3)
	v_add_co_ci_u32_e32 v9, vcc_lo, s7, v4, vcc_lo
	v_add_co_ci_u32_e64 v4, null, s11, 0, s9
	s_waitcnt vmcnt(0)
	global_store_b64 v[8:9], v[1:2], off
.LBB9_9:
	s_branch .LBB9_24
.LBB9_10:
	s_load_b64 s[0:1], s[0:1], 0x28
	s_min_u32 s9, s8, s16
	s_and_b32 vcc_lo, exec_lo, s14
	s_add_i32 s12, s15, s9
	s_delay_alu instid0(SALU_CYCLE_1) | instskip(SKIP_2) | instid1(VALU_DEP_1)
	v_subrev_nc_u32_e32 v0, s12, v5
	s_min_u32 s12, s15, s9
	s_add_i32 s15, s9, s17
	v_add_nc_u32_e32 v0, s12, v0
	s_min_u32 s12, s15, s16
	s_cbranch_vccz .LBB9_18
; %bb.11:
                                        ; implicit-def: $vgpr3_vgpr4
	s_and_saveexec_b32 s14, s3
	s_cbranch_execz .LBB9_17
; %bb.12:
	v_mov_b32_e32 v8, s9
	s_cmp_ge_u32 s8, s12
	s_cbranch_scc1 .LBB9_16
; %bb.13:
	s_waitcnt vmcnt(0) lgkmcnt(0)
	v_dual_mov_b32 v9, s12 :: v_dual_and_b32 v4, s1, v2
	v_dual_mov_b32 v8, s9 :: v_dual_and_b32 v3, s0, v1
	v_mov_b32_e32 v6, 0
	s_mov_b32 s3, 0
	.p2align	6
.LBB9_14:                               ; =>This Inner Loop Header: Depth=1
	s_delay_alu instid0(VALU_DEP_2) | instskip(NEXT) | instid1(VALU_DEP_1)
	v_add_nc_u32_e32 v5, v8, v9
	v_lshrrev_b32_e32 v5, 1, v5
	s_delay_alu instid0(VALU_DEP_1) | instskip(NEXT) | instid1(VALU_DEP_1)
	v_lshlrev_b64 v[10:11], 3, v[5:6]
	v_add_co_u32 v10, vcc_lo, s4, v10
	s_delay_alu instid0(VALU_DEP_2) | instskip(SKIP_4) | instid1(VALU_DEP_1)
	v_add_co_ci_u32_e32 v11, vcc_lo, s5, v11, vcc_lo
	global_load_b64 v[10:11], v[10:11], off
	s_waitcnt vmcnt(0)
	v_and_b32_e32 v11, s1, v11
	v_and_b32_e32 v10, s0, v10
	v_cmp_gt_i64_e32 vcc_lo, v[10:11], v[3:4]
	v_cndmask_b32_e64 v12, 0, 1, vcc_lo
	v_cmp_le_i64_e32 vcc_lo, v[3:4], v[10:11]
	v_add_nc_u32_e32 v11, 1, v5
	v_cndmask_b32_e64 v10, 0, 1, vcc_lo
	s_delay_alu instid0(VALU_DEP_1) | instskip(NEXT) | instid1(VALU_DEP_1)
	v_cndmask_b32_e64 v10, v10, v12, s2
	v_and_b32_e32 v10, 1, v10
	s_delay_alu instid0(VALU_DEP_1) | instskip(SKIP_1) | instid1(VALU_DEP_1)
	v_cmp_eq_u32_e32 vcc_lo, 1, v10
	v_dual_cndmask_b32 v9, v5, v9 :: v_dual_cndmask_b32 v8, v8, v11
	v_cmp_ge_u32_e32 vcc_lo, v8, v9
	s_or_b32 s3, vcc_lo, s3
	s_delay_alu instid0(SALU_CYCLE_1)
	s_and_not1_b32 exec_lo, exec_lo, s3
	s_cbranch_execnz .LBB9_14
; %bb.15:
	s_or_b32 exec_lo, exec_lo, s3
.LBB9_16:
	s_delay_alu instid0(VALU_DEP_1) | instskip(SKIP_1) | instid1(VALU_DEP_1)
	v_dual_mov_b32 v4, 0 :: v_dual_add_nc_u32 v3, v8, v0
	s_or_b32 s13, s13, exec_lo
	v_lshlrev_b64 v[4:5], 3, v[3:4]
	v_add_co_u32 v3, s3, s10, v3
	s_delay_alu instid0(VALU_DEP_2) | instskip(NEXT) | instid1(VALU_DEP_3)
	v_add_co_u32 v8, vcc_lo, s6, v4
	v_add_co_ci_u32_e32 v9, vcc_lo, s7, v5, vcc_lo
	v_add_co_ci_u32_e64 v4, null, s11, 0, s3
	s_waitcnt vmcnt(0)
	global_store_b64 v[8:9], v[1:2], off
.LBB9_17:
	s_or_b32 exec_lo, exec_lo, s14
	s_branch .LBB9_24
.LBB9_18:
                                        ; implicit-def: $vgpr3_vgpr4
	s_cbranch_execz .LBB9_24
; %bb.19:
	v_mov_b32_e32 v8, s9
	s_cmp_ge_u32 s8, s12
	s_cbranch_scc1 .LBB9_23
; %bb.20:
	s_waitcnt vmcnt(0) lgkmcnt(0)
	v_dual_mov_b32 v9, s12 :: v_dual_and_b32 v4, s1, v2
	v_dual_mov_b32 v8, s9 :: v_dual_and_b32 v3, s0, v1
	v_mov_b32_e32 v6, 0
	s_mov_b32 s3, 0
	.p2align	6
.LBB9_21:                               ; =>This Inner Loop Header: Depth=1
	s_delay_alu instid0(VALU_DEP_2) | instskip(NEXT) | instid1(VALU_DEP_1)
	v_add_nc_u32_e32 v5, v8, v9
	v_lshrrev_b32_e32 v5, 1, v5
	s_delay_alu instid0(VALU_DEP_1) | instskip(NEXT) | instid1(VALU_DEP_1)
	v_lshlrev_b64 v[10:11], 3, v[5:6]
	v_add_co_u32 v10, vcc_lo, s4, v10
	s_delay_alu instid0(VALU_DEP_2) | instskip(SKIP_4) | instid1(VALU_DEP_1)
	v_add_co_ci_u32_e32 v11, vcc_lo, s5, v11, vcc_lo
	global_load_b64 v[10:11], v[10:11], off
	s_waitcnt vmcnt(0)
	v_and_b32_e32 v11, s1, v11
	v_and_b32_e32 v10, s0, v10
	v_cmp_gt_i64_e32 vcc_lo, v[10:11], v[3:4]
	v_cndmask_b32_e64 v12, 0, 1, vcc_lo
	v_cmp_le_i64_e32 vcc_lo, v[3:4], v[10:11]
	v_add_nc_u32_e32 v11, 1, v5
	v_cndmask_b32_e64 v10, 0, 1, vcc_lo
	s_delay_alu instid0(VALU_DEP_1) | instskip(NEXT) | instid1(VALU_DEP_1)
	v_cndmask_b32_e64 v10, v10, v12, s2
	v_and_b32_e32 v10, 1, v10
	s_delay_alu instid0(VALU_DEP_1) | instskip(SKIP_1) | instid1(VALU_DEP_1)
	v_cmp_eq_u32_e32 vcc_lo, 1, v10
	v_dual_cndmask_b32 v9, v5, v9 :: v_dual_cndmask_b32 v8, v8, v11
	v_cmp_ge_u32_e32 vcc_lo, v8, v9
	s_or_b32 s3, vcc_lo, s3
	s_delay_alu instid0(SALU_CYCLE_1)
	s_and_not1_b32 exec_lo, exec_lo, s3
	s_cbranch_execnz .LBB9_21
; %bb.22:
	s_or_b32 exec_lo, exec_lo, s3
.LBB9_23:
	s_delay_alu instid0(VALU_DEP_1) | instskip(SKIP_1) | instid1(VALU_DEP_1)
	v_dual_mov_b32 v4, 0 :: v_dual_add_nc_u32 v3, v8, v0
	s_mov_b32 s13, -1
	v_lshlrev_b64 v[4:5], 3, v[3:4]
	s_waitcnt lgkmcnt(0)
	v_add_co_u32 v3, s0, s10, v3
	s_delay_alu instid0(VALU_DEP_2) | instskip(NEXT) | instid1(VALU_DEP_3)
	v_add_co_u32 v8, vcc_lo, s6, v4
	v_add_co_ci_u32_e32 v9, vcc_lo, s7, v5, vcc_lo
	v_add_co_ci_u32_e64 v4, null, s11, 0, s0
	s_waitcnt vmcnt(0)
	global_store_b64 v[8:9], v[1:2], off
.LBB9_24:
	s_and_b32 exec_lo, exec_lo, s13
	s_cbranch_execz .LBB9_26
; %bb.25:
	s_waitcnt vmcnt(1)
	global_store_b8 v[3:4], v7, off
.LBB9_26:
	s_nop 0
	s_sendmsg sendmsg(MSG_DEALLOC_VGPRS)
	s_endpgm
	.section	.rodata,"a",@progbits
	.p2align	6, 0x0
	.amdhsa_kernel _ZN7rocprim17ROCPRIM_304000_NS6detail33device_block_merge_oddeven_kernelINS1_37wrapped_merge_sort_block_merge_configINS0_14default_configElN2at4cuda3cub6detail10OpaqueTypeILi1EEEEEPlSC_PSA_SD_jNS1_19radix_merge_compareILb1ELb1ElNS0_19identity_decomposerEEEEEvT0_T1_T2_T3_T4_SL_T5_
		.amdhsa_group_segment_fixed_size 0
		.amdhsa_private_segment_fixed_size 0
		.amdhsa_kernarg_size 48
		.amdhsa_user_sgpr_count 15
		.amdhsa_user_sgpr_dispatch_ptr 0
		.amdhsa_user_sgpr_queue_ptr 0
		.amdhsa_user_sgpr_kernarg_segment_ptr 1
		.amdhsa_user_sgpr_dispatch_id 0
		.amdhsa_user_sgpr_private_segment_size 0
		.amdhsa_wavefront_size32 1
		.amdhsa_uses_dynamic_stack 0
		.amdhsa_enable_private_segment 0
		.amdhsa_system_sgpr_workgroup_id_x 1
		.amdhsa_system_sgpr_workgroup_id_y 0
		.amdhsa_system_sgpr_workgroup_id_z 0
		.amdhsa_system_sgpr_workgroup_info 0
		.amdhsa_system_vgpr_workitem_id 0
		.amdhsa_next_free_vgpr 13
		.amdhsa_next_free_sgpr 20
		.amdhsa_reserve_vcc 1
		.amdhsa_float_round_mode_32 0
		.amdhsa_float_round_mode_16_64 0
		.amdhsa_float_denorm_mode_32 3
		.amdhsa_float_denorm_mode_16_64 3
		.amdhsa_dx10_clamp 1
		.amdhsa_ieee_mode 1
		.amdhsa_fp16_overflow 0
		.amdhsa_workgroup_processor_mode 1
		.amdhsa_memory_ordered 1
		.amdhsa_forward_progress 0
		.amdhsa_shared_vgpr_count 0
		.amdhsa_exception_fp_ieee_invalid_op 0
		.amdhsa_exception_fp_denorm_src 0
		.amdhsa_exception_fp_ieee_div_zero 0
		.amdhsa_exception_fp_ieee_overflow 0
		.amdhsa_exception_fp_ieee_underflow 0
		.amdhsa_exception_fp_ieee_inexact 0
		.amdhsa_exception_int_div_zero 0
	.end_amdhsa_kernel
	.section	.text._ZN7rocprim17ROCPRIM_304000_NS6detail33device_block_merge_oddeven_kernelINS1_37wrapped_merge_sort_block_merge_configINS0_14default_configElN2at4cuda3cub6detail10OpaqueTypeILi1EEEEEPlSC_PSA_SD_jNS1_19radix_merge_compareILb1ELb1ElNS0_19identity_decomposerEEEEEvT0_T1_T2_T3_T4_SL_T5_,"axG",@progbits,_ZN7rocprim17ROCPRIM_304000_NS6detail33device_block_merge_oddeven_kernelINS1_37wrapped_merge_sort_block_merge_configINS0_14default_configElN2at4cuda3cub6detail10OpaqueTypeILi1EEEEEPlSC_PSA_SD_jNS1_19radix_merge_compareILb1ELb1ElNS0_19identity_decomposerEEEEEvT0_T1_T2_T3_T4_SL_T5_,comdat
.Lfunc_end9:
	.size	_ZN7rocprim17ROCPRIM_304000_NS6detail33device_block_merge_oddeven_kernelINS1_37wrapped_merge_sort_block_merge_configINS0_14default_configElN2at4cuda3cub6detail10OpaqueTypeILi1EEEEEPlSC_PSA_SD_jNS1_19radix_merge_compareILb1ELb1ElNS0_19identity_decomposerEEEEEvT0_T1_T2_T3_T4_SL_T5_, .Lfunc_end9-_ZN7rocprim17ROCPRIM_304000_NS6detail33device_block_merge_oddeven_kernelINS1_37wrapped_merge_sort_block_merge_configINS0_14default_configElN2at4cuda3cub6detail10OpaqueTypeILi1EEEEEPlSC_PSA_SD_jNS1_19radix_merge_compareILb1ELb1ElNS0_19identity_decomposerEEEEEvT0_T1_T2_T3_T4_SL_T5_
                                        ; -- End function
	.section	.AMDGPU.csdata,"",@progbits
; Kernel info:
; codeLenInByte = 996
; NumSgprs: 22
; NumVgprs: 13
; ScratchSize: 0
; MemoryBound: 0
; FloatMode: 240
; IeeeMode: 1
; LDSByteSize: 0 bytes/workgroup (compile time only)
; SGPRBlocks: 2
; VGPRBlocks: 1
; NumSGPRsForWavesPerEU: 22
; NumVGPRsForWavesPerEU: 13
; Occupancy: 16
; WaveLimiterHint : 0
; COMPUTE_PGM_RSRC2:SCRATCH_EN: 0
; COMPUTE_PGM_RSRC2:USER_SGPR: 15
; COMPUTE_PGM_RSRC2:TRAP_HANDLER: 0
; COMPUTE_PGM_RSRC2:TGID_X_EN: 1
; COMPUTE_PGM_RSRC2:TGID_Y_EN: 0
; COMPUTE_PGM_RSRC2:TGID_Z_EN: 0
; COMPUTE_PGM_RSRC2:TIDIG_COMP_CNT: 0
	.section	.text._ZN7rocprim17ROCPRIM_304000_NS6detail26onesweep_histograms_kernelINS1_34wrapped_radix_sort_onesweep_configINS0_14default_configElN2at4cuda3cub6detail10OpaqueTypeILi1EEEEELb1EPKlmNS0_19identity_decomposerEEEvT1_PT2_SG_SG_T3_jj,"axG",@progbits,_ZN7rocprim17ROCPRIM_304000_NS6detail26onesweep_histograms_kernelINS1_34wrapped_radix_sort_onesweep_configINS0_14default_configElN2at4cuda3cub6detail10OpaqueTypeILi1EEEEELb1EPKlmNS0_19identity_decomposerEEEvT1_PT2_SG_SG_T3_jj,comdat
	.protected	_ZN7rocprim17ROCPRIM_304000_NS6detail26onesweep_histograms_kernelINS1_34wrapped_radix_sort_onesweep_configINS0_14default_configElN2at4cuda3cub6detail10OpaqueTypeILi1EEEEELb1EPKlmNS0_19identity_decomposerEEEvT1_PT2_SG_SG_T3_jj ; -- Begin function _ZN7rocprim17ROCPRIM_304000_NS6detail26onesweep_histograms_kernelINS1_34wrapped_radix_sort_onesweep_configINS0_14default_configElN2at4cuda3cub6detail10OpaqueTypeILi1EEEEELb1EPKlmNS0_19identity_decomposerEEEvT1_PT2_SG_SG_T3_jj
	.globl	_ZN7rocprim17ROCPRIM_304000_NS6detail26onesweep_histograms_kernelINS1_34wrapped_radix_sort_onesweep_configINS0_14default_configElN2at4cuda3cub6detail10OpaqueTypeILi1EEEEELb1EPKlmNS0_19identity_decomposerEEEvT1_PT2_SG_SG_T3_jj
	.p2align	8
	.type	_ZN7rocprim17ROCPRIM_304000_NS6detail26onesweep_histograms_kernelINS1_34wrapped_radix_sort_onesweep_configINS0_14default_configElN2at4cuda3cub6detail10OpaqueTypeILi1EEEEELb1EPKlmNS0_19identity_decomposerEEEvT1_PT2_SG_SG_T3_jj,@function
_ZN7rocprim17ROCPRIM_304000_NS6detail26onesweep_histograms_kernelINS1_34wrapped_radix_sort_onesweep_configINS0_14default_configElN2at4cuda3cub6detail10OpaqueTypeILi1EEEEELb1EPKlmNS0_19identity_decomposerEEEvT1_PT2_SG_SG_T3_jj: ; @_ZN7rocprim17ROCPRIM_304000_NS6detail26onesweep_histograms_kernelINS1_34wrapped_radix_sort_onesweep_configINS0_14default_configElN2at4cuda3cub6detail10OpaqueTypeILi1EEEEELb1EPKlmNS0_19identity_decomposerEEEvT1_PT2_SG_SG_T3_jj
; %bb.0:
	s_clause 0x1
	s_load_b256 s[16:23], s[0:1], 0x0
	s_load_b64 s[24:25], s[0:1], 0x24
	s_mov_b32 s2, s15
	s_mov_b32 s3, 0
	v_lshlrev_b32_e32 v35, 3, v0
	s_lshl_b64 s[0:1], s[2:3], 15
	s_waitcnt lgkmcnt(0)
	v_cmp_ge_u64_e64 s4, s[2:3], s[22:23]
	s_add_u32 s16, s16, s0
	s_addc_u32 s17, s17, s1
	s_mov_b32 s0, -1
	s_delay_alu instid0(VALU_DEP_1)
	s_and_b32 vcc_lo, exec_lo, s4
	s_cbranch_vccz .LBB10_106
; %bb.1:
	s_lshl_b32 s0, s22, 12
                                        ; implicit-def: $vgpr31_vgpr32
	s_delay_alu instid0(SALU_CYCLE_1) | instskip(SKIP_1) | instid1(VALU_DEP_1)
	s_sub_i32 s15, s20, s0
	v_add_co_u32 v33, s0, s16, v35
	v_add_co_ci_u32_e64 v34, null, s17, 0, s0
	v_cmp_gt_u32_e64 s14, s15, v0
	s_delay_alu instid0(VALU_DEP_1)
	s_and_saveexec_b32 s0, s14
	s_cbranch_execz .LBB10_3
; %bb.2:
	global_load_b64 v[31:32], v[33:34], off
.LBB10_3:
	s_or_b32 exec_lo, exec_lo, s0
	v_or_b32_e32 v1, 0x100, v0
                                        ; implicit-def: $vgpr29_vgpr30
	s_delay_alu instid0(VALU_DEP_1) | instskip(NEXT) | instid1(VALU_DEP_1)
	v_cmp_gt_u32_e64 s13, s15, v1
	s_and_saveexec_b32 s0, s13
	s_cbranch_execz .LBB10_5
; %bb.4:
	global_load_b64 v[29:30], v[33:34], off offset:2048
.LBB10_5:
	s_or_b32 exec_lo, exec_lo, s0
	v_or_b32_e32 v1, 0x200, v0
                                        ; implicit-def: $vgpr27_vgpr28
	s_delay_alu instid0(VALU_DEP_1) | instskip(NEXT) | instid1(VALU_DEP_1)
	v_cmp_gt_u32_e64 s12, s15, v1
	s_and_saveexec_b32 s0, s12
	s_cbranch_execz .LBB10_7
; %bb.6:
	v_add_co_u32 v1, vcc_lo, 0x1000, v33
	v_add_co_ci_u32_e32 v2, vcc_lo, 0, v34, vcc_lo
	global_load_b64 v[27:28], v[1:2], off
.LBB10_7:
	s_or_b32 exec_lo, exec_lo, s0
	v_or_b32_e32 v1, 0x300, v0
                                        ; implicit-def: $vgpr25_vgpr26
	s_delay_alu instid0(VALU_DEP_1) | instskip(NEXT) | instid1(VALU_DEP_1)
	v_cmp_gt_u32_e64 s11, s15, v1
	s_and_saveexec_b32 s0, s11
	s_cbranch_execz .LBB10_9
; %bb.8:
	v_add_co_u32 v1, vcc_lo, 0x1000, v33
	v_add_co_ci_u32_e32 v2, vcc_lo, 0, v34, vcc_lo
	global_load_b64 v[25:26], v[1:2], off offset:2048
.LBB10_9:
	s_or_b32 exec_lo, exec_lo, s0
	v_or_b32_e32 v1, 0x400, v0
                                        ; implicit-def: $vgpr23_vgpr24
	s_delay_alu instid0(VALU_DEP_1) | instskip(NEXT) | instid1(VALU_DEP_1)
	v_cmp_gt_u32_e64 s10, s15, v1
	s_and_saveexec_b32 s0, s10
	s_cbranch_execz .LBB10_11
; %bb.10:
	v_add_co_u32 v1, vcc_lo, 0x2000, v33
	v_add_co_ci_u32_e32 v2, vcc_lo, 0, v34, vcc_lo
	global_load_b64 v[23:24], v[1:2], off
.LBB10_11:
	s_or_b32 exec_lo, exec_lo, s0
	v_or_b32_e32 v1, 0x500, v0
                                        ; implicit-def: $vgpr21_vgpr22
	s_delay_alu instid0(VALU_DEP_1) | instskip(NEXT) | instid1(VALU_DEP_1)
	v_cmp_gt_u32_e64 s9, s15, v1
	s_and_saveexec_b32 s0, s9
	s_cbranch_execz .LBB10_13
; %bb.12:
	v_add_co_u32 v1, vcc_lo, 0x2000, v33
	v_add_co_ci_u32_e32 v2, vcc_lo, 0, v34, vcc_lo
	global_load_b64 v[21:22], v[1:2], off offset:2048
.LBB10_13:
	s_or_b32 exec_lo, exec_lo, s0
	v_or_b32_e32 v1, 0x600, v0
                                        ; implicit-def: $vgpr19_vgpr20
	s_delay_alu instid0(VALU_DEP_1) | instskip(NEXT) | instid1(VALU_DEP_1)
	v_cmp_gt_u32_e64 s8, s15, v1
	s_and_saveexec_b32 s0, s8
	s_cbranch_execz .LBB10_15
; %bb.14:
	v_add_co_u32 v1, vcc_lo, 0x3000, v33
	v_add_co_ci_u32_e32 v2, vcc_lo, 0, v34, vcc_lo
	global_load_b64 v[19:20], v[1:2], off
.LBB10_15:
	s_or_b32 exec_lo, exec_lo, s0
	v_or_b32_e32 v1, 0x700, v0
                                        ; implicit-def: $vgpr17_vgpr18
	s_delay_alu instid0(VALU_DEP_1) | instskip(NEXT) | instid1(VALU_DEP_1)
	v_cmp_gt_u32_e64 s7, s15, v1
	s_and_saveexec_b32 s0, s7
	s_cbranch_execz .LBB10_17
; %bb.16:
	v_add_co_u32 v1, vcc_lo, 0x3000, v33
	v_add_co_ci_u32_e32 v2, vcc_lo, 0, v34, vcc_lo
	global_load_b64 v[17:18], v[1:2], off offset:2048
.LBB10_17:
	s_or_b32 exec_lo, exec_lo, s0
	v_or_b32_e32 v1, 0x800, v0
                                        ; implicit-def: $vgpr15_vgpr16
	s_delay_alu instid0(VALU_DEP_1) | instskip(NEXT) | instid1(VALU_DEP_1)
	v_cmp_gt_u32_e64 s6, s15, v1
	s_and_saveexec_b32 s0, s6
	s_cbranch_execz .LBB10_19
; %bb.18:
	v_add_co_u32 v1, vcc_lo, 0x4000, v33
	v_add_co_ci_u32_e32 v2, vcc_lo, 0, v34, vcc_lo
	global_load_b64 v[15:16], v[1:2], off
.LBB10_19:
	s_or_b32 exec_lo, exec_lo, s0
	v_or_b32_e32 v1, 0x900, v0
                                        ; implicit-def: $vgpr13_vgpr14
	s_delay_alu instid0(VALU_DEP_1) | instskip(NEXT) | instid1(VALU_DEP_1)
	v_cmp_gt_u32_e64 s5, s15, v1
	s_and_saveexec_b32 s0, s5
	s_cbranch_execz .LBB10_21
; %bb.20:
	v_add_co_u32 v1, vcc_lo, 0x4000, v33
	v_add_co_ci_u32_e32 v2, vcc_lo, 0, v34, vcc_lo
	global_load_b64 v[13:14], v[1:2], off offset:2048
.LBB10_21:
	s_or_b32 exec_lo, exec_lo, s0
	v_or_b32_e32 v1, 0xa00, v0
                                        ; implicit-def: $vgpr11_vgpr12
	s_delay_alu instid0(VALU_DEP_1) | instskip(NEXT) | instid1(VALU_DEP_1)
	v_cmp_gt_u32_e64 s4, s15, v1
	s_and_saveexec_b32 s0, s4
	s_cbranch_execz .LBB10_23
; %bb.22:
	v_add_co_u32 v1, vcc_lo, 0x5000, v33
	v_add_co_ci_u32_e32 v2, vcc_lo, 0, v34, vcc_lo
	global_load_b64 v[11:12], v[1:2], off
.LBB10_23:
	s_or_b32 exec_lo, exec_lo, s0
	v_or_b32_e32 v1, 0xb00, v0
                                        ; implicit-def: $vgpr9_vgpr10
	s_delay_alu instid0(VALU_DEP_1) | instskip(NEXT) | instid1(VALU_DEP_1)
	v_cmp_gt_u32_e64 s3, s15, v1
	s_and_saveexec_b32 s0, s3
	s_cbranch_execz .LBB10_25
; %bb.24:
	v_add_co_u32 v1, vcc_lo, 0x5000, v33
	v_add_co_ci_u32_e32 v2, vcc_lo, 0, v34, vcc_lo
	global_load_b64 v[1:2], v[1:2], off offset:2048
	s_waitcnt vmcnt(0)
	v_xor_b32_e32 v10, 0x7fffffff, v2
	v_not_b32_e32 v9, v1
.LBB10_25:
	s_or_b32 exec_lo, exec_lo, s0
	v_or_b32_e32 v1, 0xc00, v0
                                        ; implicit-def: $vgpr7_vgpr8
	s_delay_alu instid0(VALU_DEP_1) | instskip(NEXT) | instid1(VALU_DEP_1)
	v_cmp_gt_u32_e64 s2, s15, v1
	s_and_saveexec_b32 s0, s2
	s_cbranch_execz .LBB10_27
; %bb.26:
	v_add_co_u32 v1, vcc_lo, 0x6000, v33
	v_add_co_ci_u32_e32 v2, vcc_lo, 0, v34, vcc_lo
	global_load_b64 v[1:2], v[1:2], off
	s_waitcnt vmcnt(0)
	v_xor_b32_e32 v8, 0x7fffffff, v2
	v_not_b32_e32 v7, v1
.LBB10_27:
	s_or_b32 exec_lo, exec_lo, s0
	v_or_b32_e32 v1, 0xd00, v0
                                        ; implicit-def: $vgpr5_vgpr6
	s_delay_alu instid0(VALU_DEP_1) | instskip(NEXT) | instid1(VALU_DEP_1)
	v_cmp_gt_u32_e64 s1, s15, v1
	s_and_saveexec_b32 s0, s1
	s_cbranch_execz .LBB10_29
; %bb.28:
	v_add_co_u32 v1, vcc_lo, 0x6000, v33
	v_add_co_ci_u32_e32 v2, vcc_lo, 0, v34, vcc_lo
	global_load_b64 v[1:2], v[1:2], off offset:2048
	s_waitcnt vmcnt(0)
	v_xor_b32_e32 v6, 0x7fffffff, v2
	v_not_b32_e32 v5, v1
.LBB10_29:
	s_or_b32 exec_lo, exec_lo, s0
	v_or_b32_e32 v1, 0xe00, v0
                                        ; implicit-def: $vgpr3_vgpr4
	s_delay_alu instid0(VALU_DEP_1) | instskip(NEXT) | instid1(VALU_DEP_1)
	v_cmp_gt_u32_e64 s0, s15, v1
	s_and_saveexec_b32 s20, s0
	s_cbranch_execz .LBB10_31
; %bb.30:
	v_add_co_u32 v1, vcc_lo, 0x7000, v33
	v_add_co_ci_u32_e32 v2, vcc_lo, 0, v34, vcc_lo
	global_load_b64 v[1:2], v[1:2], off
	s_waitcnt vmcnt(0)
	v_xor_b32_e32 v4, 0x7fffffff, v2
	v_not_b32_e32 v3, v1
.LBB10_31:
	s_or_b32 exec_lo, exec_lo, s20
	v_or_b32_e32 v1, 0xf00, v0
	s_delay_alu instid0(VALU_DEP_1)
	v_cmp_gt_u32_e32 vcc_lo, s15, v1
                                        ; implicit-def: $vgpr1_vgpr2
	s_and_saveexec_b32 s20, vcc_lo
	s_cbranch_execz .LBB10_33
; %bb.32:
	v_add_co_u32 v1, s15, 0x7000, v33
	s_delay_alu instid0(VALU_DEP_1)
	v_add_co_ci_u32_e64 v2, s15, 0, v34, s15
	global_load_b64 v[1:2], v[1:2], off offset:2048
	s_waitcnt vmcnt(0)
	v_xor_b32_e32 v2, 0x7fffffff, v2
	v_not_b32_e32 v1, v1
.LBB10_33:
	s_or_b32 exec_lo, exec_lo, s20
	v_or_b32_e32 v33, 0xffffff00, v0
	v_lshlrev_b32_e32 v34, 2, v0
	v_mov_b32_e32 v36, 0
	s_mov_b32 s20, 0
.LBB10_34:                              ; =>This Inner Loop Header: Depth=1
	s_delay_alu instid0(VALU_DEP_3) | instskip(SKIP_3) | instid1(VALU_DEP_1)
	v_add_nc_u32_e32 v33, 0x100, v33
	ds_store_b32 v34, v36
	v_add_nc_u32_e32 v34, 0x400, v34
	v_cmp_lt_u32_e64 s15, 0x1eff, v33
	s_or_b32 s20, s15, s20
	s_delay_alu instid0(SALU_CYCLE_1)
	s_and_not1_b32 exec_lo, exec_lo, s20
	s_cbranch_execnz .LBB10_34
; %bb.35:
	s_or_b32 exec_lo, exec_lo, s20
	s_cmp_gt_u32 s25, s24
	s_waitcnt vmcnt(0) lgkmcnt(0)
	s_cselect_b32 s15, -1, 0
	s_cmp_le_u32 s25, s24
	s_barrier
	buffer_gl0_inv
	s_cbranch_scc1 .LBB10_100
; %bb.36:
	v_dual_mov_b32 v34, 1 :: v_dual_and_b32 v33, 3, v0
	v_xor_b32_e32 v32, 0x7fffffff, v32
	v_not_b32_e32 v31, v31
	s_sub_i32 s20, s25, s24
	s_delay_alu instid0(VALU_DEP_3) | instskip(SKIP_2) | instid1(VALU_DEP_1)
	v_lshlrev_b32_e32 v33, 2, v33
	s_mov_b32 s21, s20
	s_mov_b32 s22, s24
	v_mov_b32_e32 v36, v33
	s_branch .LBB10_38
	.p2align	6
.LBB10_37:                              ;   in Loop: Header=BB10_38 Depth=1
	s_or_b32 exec_lo, exec_lo, s23
	v_add_nc_u32_e32 v36, 0x1000, v36
	s_add_i32 s22, s22, 8
	s_add_i32 s21, s21, -8
	s_cmp_lt_u32 s22, s25
	s_cbranch_scc0 .LBB10_40
.LBB10_38:                              ; =>This Inner Loop Header: Depth=1
	s_and_saveexec_b32 s23, s14
	s_cbranch_execz .LBB10_37
; %bb.39:                               ;   in Loop: Header=BB10_38 Depth=1
	v_lshrrev_b64 v[37:38], s22, v[31:32]
	s_min_u32 s26, s21, 8
	s_delay_alu instid0(VALU_DEP_1) | instid1(SALU_CYCLE_1)
	v_bfe_u32 v37, v37, 0, s26
	s_delay_alu instid0(VALU_DEP_1)
	v_lshl_add_u32 v37, v37, 4, v36
	ds_add_u32 v37, v34
	s_branch .LBB10_37
.LBB10_40:
	v_xor_b32_e32 v30, 0x7fffffff, v30
	v_not_b32_e32 v29, v29
	v_dual_mov_b32 v31, 1 :: v_dual_mov_b32 v32, v33
	s_mov_b32 s14, s20
	s_mov_b32 s21, s24
	s_branch .LBB10_42
	.p2align	6
.LBB10_41:                              ;   in Loop: Header=BB10_42 Depth=1
	s_or_b32 exec_lo, exec_lo, s22
	v_add_nc_u32_e32 v32, 0x1000, v32
	s_add_i32 s21, s21, 8
	s_add_i32 s14, s14, -8
	s_cmp_lt_u32 s21, s25
	s_cbranch_scc0 .LBB10_44
.LBB10_42:                              ; =>This Inner Loop Header: Depth=1
	s_and_saveexec_b32 s22, s13
	s_cbranch_execz .LBB10_41
; %bb.43:                               ;   in Loop: Header=BB10_42 Depth=1
	v_lshrrev_b64 v[36:37], s21, v[29:30]
	s_min_u32 s23, s14, 8
	s_delay_alu instid0(VALU_DEP_1) | instid1(SALU_CYCLE_1)
	v_bfe_u32 v34, v36, 0, s23
	s_delay_alu instid0(VALU_DEP_1)
	v_lshl_add_u32 v34, v34, 4, v32
	ds_add_u32 v34, v31
	s_branch .LBB10_41
.LBB10_44:
	v_xor_b32_e32 v28, 0x7fffffff, v28
	v_not_b32_e32 v27, v27
	v_dual_mov_b32 v29, 1 :: v_dual_mov_b32 v30, v33
	s_mov_b32 s13, s20
	s_mov_b32 s14, s24
	s_branch .LBB10_46
	.p2align	6
.LBB10_45:                              ;   in Loop: Header=BB10_46 Depth=1
	s_or_b32 exec_lo, exec_lo, s21
	v_add_nc_u32_e32 v30, 0x1000, v30
	s_add_i32 s14, s14, 8
	s_add_i32 s13, s13, -8
	s_cmp_lt_u32 s14, s25
	s_cbranch_scc0 .LBB10_48
.LBB10_46:                              ; =>This Inner Loop Header: Depth=1
	s_and_saveexec_b32 s21, s12
	s_cbranch_execz .LBB10_45
; %bb.47:                               ;   in Loop: Header=BB10_46 Depth=1
	v_lshrrev_b64 v[31:32], s14, v[27:28]
	s_min_u32 s22, s13, 8
	s_delay_alu instid0(VALU_DEP_1) | instid1(SALU_CYCLE_1)
	v_bfe_u32 v31, v31, 0, s22
	s_delay_alu instid0(VALU_DEP_1)
	v_lshl_add_u32 v31, v31, 4, v30
	ds_add_u32 v31, v29
	s_branch .LBB10_45
.LBB10_48:
	v_xor_b32_e32 v26, 0x7fffffff, v26
	v_not_b32_e32 v25, v25
	v_dual_mov_b32 v27, 1 :: v_dual_mov_b32 v28, v33
	s_mov_b32 s12, s20
	s_mov_b32 s13, s24
	s_branch .LBB10_50
	.p2align	6
.LBB10_49:                              ;   in Loop: Header=BB10_50 Depth=1
	s_or_b32 exec_lo, exec_lo, s14
	v_add_nc_u32_e32 v28, 0x1000, v28
	s_add_i32 s13, s13, 8
	s_add_i32 s12, s12, -8
	s_cmp_lt_u32 s13, s25
	s_cbranch_scc0 .LBB10_52
.LBB10_50:                              ; =>This Inner Loop Header: Depth=1
	s_and_saveexec_b32 s14, s11
	s_cbranch_execz .LBB10_49
; %bb.51:                               ;   in Loop: Header=BB10_50 Depth=1
	v_lshrrev_b64 v[29:30], s13, v[25:26]
	s_min_u32 s21, s12, 8
	s_delay_alu instid0(VALU_DEP_1) | instid1(SALU_CYCLE_1)
	v_bfe_u32 v29, v29, 0, s21
	s_delay_alu instid0(VALU_DEP_1)
	v_lshl_add_u32 v29, v29, 4, v28
	ds_add_u32 v29, v27
	s_branch .LBB10_49
.LBB10_52:
	v_xor_b32_e32 v24, 0x7fffffff, v24
	v_not_b32_e32 v23, v23
	v_dual_mov_b32 v25, 1 :: v_dual_mov_b32 v26, v33
	s_mov_b32 s11, s20
	s_mov_b32 s12, s24
	s_branch .LBB10_54
	.p2align	6
.LBB10_53:                              ;   in Loop: Header=BB10_54 Depth=1
	s_or_b32 exec_lo, exec_lo, s13
	v_add_nc_u32_e32 v26, 0x1000, v26
	s_add_i32 s12, s12, 8
	s_add_i32 s11, s11, -8
	s_cmp_lt_u32 s12, s25
	s_cbranch_scc0 .LBB10_56
.LBB10_54:                              ; =>This Inner Loop Header: Depth=1
	s_and_saveexec_b32 s13, s10
	s_cbranch_execz .LBB10_53
; %bb.55:                               ;   in Loop: Header=BB10_54 Depth=1
	v_lshrrev_b64 v[27:28], s12, v[23:24]
	s_min_u32 s14, s11, 8
	s_delay_alu instid0(VALU_DEP_1) | instid1(SALU_CYCLE_1)
	v_bfe_u32 v27, v27, 0, s14
	s_delay_alu instid0(VALU_DEP_1)
	v_lshl_add_u32 v27, v27, 4, v26
	ds_add_u32 v27, v25
	s_branch .LBB10_53
.LBB10_56:
	v_xor_b32_e32 v22, 0x7fffffff, v22
	v_not_b32_e32 v21, v21
	v_dual_mov_b32 v23, 1 :: v_dual_mov_b32 v24, v33
	s_mov_b32 s10, s20
	s_mov_b32 s11, s24
	s_branch .LBB10_58
	.p2align	6
.LBB10_57:                              ;   in Loop: Header=BB10_58 Depth=1
	s_or_b32 exec_lo, exec_lo, s12
	v_add_nc_u32_e32 v24, 0x1000, v24
	s_add_i32 s11, s11, 8
	s_add_i32 s10, s10, -8
	s_cmp_lt_u32 s11, s25
	s_cbranch_scc0 .LBB10_60
.LBB10_58:                              ; =>This Inner Loop Header: Depth=1
	s_and_saveexec_b32 s12, s9
	s_cbranch_execz .LBB10_57
; %bb.59:                               ;   in Loop: Header=BB10_58 Depth=1
	v_lshrrev_b64 v[25:26], s11, v[21:22]
	s_min_u32 s13, s10, 8
	s_delay_alu instid0(VALU_DEP_1) | instid1(SALU_CYCLE_1)
	v_bfe_u32 v25, v25, 0, s13
	s_delay_alu instid0(VALU_DEP_1)
	v_lshl_add_u32 v25, v25, 4, v24
	ds_add_u32 v25, v23
	s_branch .LBB10_57
.LBB10_60:
	v_xor_b32_e32 v20, 0x7fffffff, v20
	v_not_b32_e32 v19, v19
	v_dual_mov_b32 v21, 1 :: v_dual_mov_b32 v22, v33
	s_mov_b32 s9, s20
	s_mov_b32 s10, s24
	s_branch .LBB10_62
	.p2align	6
.LBB10_61:                              ;   in Loop: Header=BB10_62 Depth=1
	s_or_b32 exec_lo, exec_lo, s11
	v_add_nc_u32_e32 v22, 0x1000, v22
	s_add_i32 s10, s10, 8
	s_add_i32 s9, s9, -8
	s_cmp_lt_u32 s10, s25
	s_cbranch_scc0 .LBB10_64
.LBB10_62:                              ; =>This Inner Loop Header: Depth=1
	s_and_saveexec_b32 s11, s8
	s_cbranch_execz .LBB10_61
; %bb.63:                               ;   in Loop: Header=BB10_62 Depth=1
	v_lshrrev_b64 v[23:24], s10, v[19:20]
	s_min_u32 s12, s9, 8
	s_delay_alu instid0(VALU_DEP_1) | instid1(SALU_CYCLE_1)
	v_bfe_u32 v23, v23, 0, s12
	s_delay_alu instid0(VALU_DEP_1)
	v_lshl_add_u32 v23, v23, 4, v22
	ds_add_u32 v23, v21
	s_branch .LBB10_61
.LBB10_64:
	v_xor_b32_e32 v18, 0x7fffffff, v18
	v_not_b32_e32 v17, v17
	v_dual_mov_b32 v19, 1 :: v_dual_mov_b32 v20, v33
	s_mov_b32 s8, s20
	s_mov_b32 s9, s24
	s_branch .LBB10_66
	.p2align	6
.LBB10_65:                              ;   in Loop: Header=BB10_66 Depth=1
	s_or_b32 exec_lo, exec_lo, s10
	v_add_nc_u32_e32 v20, 0x1000, v20
	s_add_i32 s9, s9, 8
	s_add_i32 s8, s8, -8
	s_cmp_lt_u32 s9, s25
	s_cbranch_scc0 .LBB10_68
.LBB10_66:                              ; =>This Inner Loop Header: Depth=1
	s_and_saveexec_b32 s10, s7
	s_cbranch_execz .LBB10_65
; %bb.67:                               ;   in Loop: Header=BB10_66 Depth=1
	v_lshrrev_b64 v[21:22], s9, v[17:18]
	s_min_u32 s11, s8, 8
	s_delay_alu instid0(VALU_DEP_1) | instid1(SALU_CYCLE_1)
	v_bfe_u32 v21, v21, 0, s11
	s_delay_alu instid0(VALU_DEP_1)
	v_lshl_add_u32 v21, v21, 4, v20
	ds_add_u32 v21, v19
	s_branch .LBB10_65
.LBB10_68:
	v_xor_b32_e32 v16, 0x7fffffff, v16
	v_not_b32_e32 v15, v15
	v_dual_mov_b32 v17, 1 :: v_dual_mov_b32 v18, v33
	s_mov_b32 s7, s20
	s_mov_b32 s8, s24
	s_branch .LBB10_70
	.p2align	6
.LBB10_69:                              ;   in Loop: Header=BB10_70 Depth=1
	s_or_b32 exec_lo, exec_lo, s9
	v_add_nc_u32_e32 v18, 0x1000, v18
	s_add_i32 s8, s8, 8
	s_add_i32 s7, s7, -8
	s_cmp_lt_u32 s8, s25
	s_cbranch_scc0 .LBB10_72
.LBB10_70:                              ; =>This Inner Loop Header: Depth=1
	s_and_saveexec_b32 s9, s6
	s_cbranch_execz .LBB10_69
; %bb.71:                               ;   in Loop: Header=BB10_70 Depth=1
	v_lshrrev_b64 v[19:20], s8, v[15:16]
	s_min_u32 s10, s7, 8
	s_delay_alu instid0(VALU_DEP_1) | instid1(SALU_CYCLE_1)
	v_bfe_u32 v19, v19, 0, s10
	s_delay_alu instid0(VALU_DEP_1)
	v_lshl_add_u32 v19, v19, 4, v18
	ds_add_u32 v19, v17
	s_branch .LBB10_69
.LBB10_72:
	v_xor_b32_e32 v14, 0x7fffffff, v14
	v_not_b32_e32 v13, v13
	v_dual_mov_b32 v15, 1 :: v_dual_mov_b32 v16, v33
	s_mov_b32 s6, s20
	s_mov_b32 s7, s24
	s_branch .LBB10_74
	.p2align	6
.LBB10_73:                              ;   in Loop: Header=BB10_74 Depth=1
	s_or_b32 exec_lo, exec_lo, s8
	v_add_nc_u32_e32 v16, 0x1000, v16
	s_add_i32 s7, s7, 8
	s_add_i32 s6, s6, -8
	s_cmp_lt_u32 s7, s25
	s_cbranch_scc0 .LBB10_76
.LBB10_74:                              ; =>This Inner Loop Header: Depth=1
	s_and_saveexec_b32 s8, s5
	s_cbranch_execz .LBB10_73
; %bb.75:                               ;   in Loop: Header=BB10_74 Depth=1
	v_lshrrev_b64 v[17:18], s7, v[13:14]
	s_min_u32 s9, s6, 8
	s_delay_alu instid0(VALU_DEP_1) | instid1(SALU_CYCLE_1)
	v_bfe_u32 v17, v17, 0, s9
	s_delay_alu instid0(VALU_DEP_1)
	v_lshl_add_u32 v17, v17, 4, v16
	ds_add_u32 v17, v15
	s_branch .LBB10_73
.LBB10_76:
	v_xor_b32_e32 v12, 0x7fffffff, v12
	v_not_b32_e32 v11, v11
	v_dual_mov_b32 v13, 1 :: v_dual_mov_b32 v14, v33
	s_mov_b32 s5, s20
	s_mov_b32 s6, s24
	s_branch .LBB10_78
	.p2align	6
.LBB10_77:                              ;   in Loop: Header=BB10_78 Depth=1
	s_or_b32 exec_lo, exec_lo, s7
	v_add_nc_u32_e32 v14, 0x1000, v14
	s_add_i32 s6, s6, 8
	s_add_i32 s5, s5, -8
	s_cmp_lt_u32 s6, s25
	s_cbranch_scc0 .LBB10_80
.LBB10_78:                              ; =>This Inner Loop Header: Depth=1
	s_and_saveexec_b32 s7, s4
	s_cbranch_execz .LBB10_77
; %bb.79:                               ;   in Loop: Header=BB10_78 Depth=1
	v_lshrrev_b64 v[15:16], s6, v[11:12]
	s_min_u32 s8, s5, 8
	s_delay_alu instid0(VALU_DEP_1) | instid1(SALU_CYCLE_1)
	v_bfe_u32 v15, v15, 0, s8
	s_delay_alu instid0(VALU_DEP_1)
	v_lshl_add_u32 v15, v15, 4, v14
	ds_add_u32 v15, v13
	s_branch .LBB10_77
.LBB10_80:
	v_dual_mov_b32 v11, 1 :: v_dual_mov_b32 v12, v33
	s_mov_b32 s4, s20
	s_mov_b32 s5, s24
	s_branch .LBB10_82
	.p2align	6
.LBB10_81:                              ;   in Loop: Header=BB10_82 Depth=1
	s_or_b32 exec_lo, exec_lo, s6
	v_add_nc_u32_e32 v12, 0x1000, v12
	s_add_i32 s5, s5, 8
	s_add_i32 s4, s4, -8
	s_cmp_lt_u32 s5, s25
	s_cbranch_scc0 .LBB10_84
.LBB10_82:                              ; =>This Inner Loop Header: Depth=1
	s_and_saveexec_b32 s6, s3
	s_cbranch_execz .LBB10_81
; %bb.83:                               ;   in Loop: Header=BB10_82 Depth=1
	v_lshrrev_b64 v[13:14], s5, v[9:10]
	s_min_u32 s7, s4, 8
	s_delay_alu instid0(VALU_DEP_1) | instid1(SALU_CYCLE_1)
	v_bfe_u32 v13, v13, 0, s7
	s_delay_alu instid0(VALU_DEP_1)
	v_lshl_add_u32 v13, v13, 4, v12
	ds_add_u32 v13, v11
	s_branch .LBB10_81
.LBB10_84:
	v_dual_mov_b32 v9, 1 :: v_dual_mov_b32 v10, v33
	s_mov_b32 s3, s20
	s_mov_b32 s4, s24
	s_branch .LBB10_86
	.p2align	6
.LBB10_85:                              ;   in Loop: Header=BB10_86 Depth=1
	s_or_b32 exec_lo, exec_lo, s5
	v_add_nc_u32_e32 v10, 0x1000, v10
	s_add_i32 s4, s4, 8
	s_add_i32 s3, s3, -8
	s_cmp_lt_u32 s4, s25
	s_cbranch_scc0 .LBB10_88
.LBB10_86:                              ; =>This Inner Loop Header: Depth=1
	s_and_saveexec_b32 s5, s2
	s_cbranch_execz .LBB10_85
; %bb.87:                               ;   in Loop: Header=BB10_86 Depth=1
	v_lshrrev_b64 v[11:12], s4, v[7:8]
	s_min_u32 s6, s3, 8
	s_delay_alu instid0(VALU_DEP_1) | instid1(SALU_CYCLE_1)
	v_bfe_u32 v11, v11, 0, s6
	s_delay_alu instid0(VALU_DEP_1)
	v_lshl_add_u32 v11, v11, 4, v10
	ds_add_u32 v11, v9
	s_branch .LBB10_85
.LBB10_88:
	v_dual_mov_b32 v7, 1 :: v_dual_mov_b32 v8, v33
	s_mov_b32 s2, s20
	s_mov_b32 s3, s24
	s_branch .LBB10_90
	.p2align	6
.LBB10_89:                              ;   in Loop: Header=BB10_90 Depth=1
	s_or_b32 exec_lo, exec_lo, s4
	v_add_nc_u32_e32 v8, 0x1000, v8
	s_add_i32 s3, s3, 8
	s_add_i32 s2, s2, -8
	s_cmp_lt_u32 s3, s25
	s_cbranch_scc0 .LBB10_92
.LBB10_90:                              ; =>This Inner Loop Header: Depth=1
	s_and_saveexec_b32 s4, s1
	s_cbranch_execz .LBB10_89
; %bb.91:                               ;   in Loop: Header=BB10_90 Depth=1
	v_lshrrev_b64 v[9:10], s3, v[5:6]
	s_min_u32 s5, s2, 8
	s_delay_alu instid0(VALU_DEP_1) | instid1(SALU_CYCLE_1)
	v_bfe_u32 v9, v9, 0, s5
	s_delay_alu instid0(VALU_DEP_1)
	v_lshl_add_u32 v9, v9, 4, v8
	ds_add_u32 v9, v7
	s_branch .LBB10_89
.LBB10_92:
	v_dual_mov_b32 v5, 1 :: v_dual_mov_b32 v6, v33
	s_mov_b32 s1, s20
	s_mov_b32 s2, s24
	s_branch .LBB10_94
	.p2align	6
.LBB10_93:                              ;   in Loop: Header=BB10_94 Depth=1
	s_or_b32 exec_lo, exec_lo, s3
	v_add_nc_u32_e32 v6, 0x1000, v6
	s_add_i32 s2, s2, 8
	s_add_i32 s1, s1, -8
	s_cmp_lt_u32 s2, s25
	s_cbranch_scc0 .LBB10_96
.LBB10_94:                              ; =>This Inner Loop Header: Depth=1
	s_and_saveexec_b32 s3, s0
	s_cbranch_execz .LBB10_93
; %bb.95:                               ;   in Loop: Header=BB10_94 Depth=1
	v_lshrrev_b64 v[7:8], s2, v[3:4]
	s_min_u32 s4, s1, 8
	s_delay_alu instid0(VALU_DEP_1) | instid1(SALU_CYCLE_1)
	v_bfe_u32 v7, v7, 0, s4
	s_delay_alu instid0(VALU_DEP_1)
	v_lshl_add_u32 v7, v7, 4, v6
	ds_add_u32 v7, v5
	s_branch .LBB10_93
.LBB10_96:
	v_mov_b32_e32 v3, 1
	s_mov_b32 s0, s24
	s_branch .LBB10_98
	.p2align	6
.LBB10_97:                              ;   in Loop: Header=BB10_98 Depth=1
	s_or_b32 exec_lo, exec_lo, s1
	v_add_nc_u32_e32 v33, 0x1000, v33
	s_add_i32 s0, s0, 8
	s_add_i32 s20, s20, -8
	s_cmp_lt_u32 s0, s25
	s_cbranch_scc0 .LBB10_100
.LBB10_98:                              ; =>This Inner Loop Header: Depth=1
	s_and_saveexec_b32 s1, vcc_lo
	s_cbranch_execz .LBB10_97
; %bb.99:                               ;   in Loop: Header=BB10_98 Depth=1
	v_lshrrev_b64 v[4:5], s0, v[1:2]
	s_min_u32 s2, s20, 8
	s_delay_alu instid0(VALU_DEP_1) | instid1(SALU_CYCLE_1)
	v_bfe_u32 v4, v4, 0, s2
	s_delay_alu instid0(VALU_DEP_1)
	v_lshl_add_u32 v4, v4, 4, v33
	ds_add_u32 v4, v3
	s_branch .LBB10_97
.LBB10_100:
	s_and_b32 vcc_lo, exec_lo, s15
	s_waitcnt lgkmcnt(0)
	s_barrier
	buffer_gl0_inv
	s_cbranch_vccz .LBB10_105
; %bb.101:
	v_cmp_gt_u32_e32 vcc_lo, 0x100, v0
	v_dual_mov_b32 v2, 0 :: v_dual_lshlrev_b32 v3, 4, v0
	v_mov_b32_e32 v1, v0
	s_mov_b32 s1, s24
	s_set_inst_prefetch_distance 0x1
	s_branch .LBB10_103
	.p2align	6
.LBB10_102:                             ;   in Loop: Header=BB10_103 Depth=1
	s_or_b32 exec_lo, exec_lo, s2
	v_add_nc_u32_e32 v1, 0x100, v1
	v_add_nc_u32_e32 v3, 0x1000, v3
	s_add_i32 s1, s1, 8
	s_delay_alu instid0(SALU_CYCLE_1)
	s_cmp_lt_u32 s1, s25
	s_cbranch_scc0 .LBB10_105
.LBB10_103:                             ; =>This Inner Loop Header: Depth=1
	s_and_saveexec_b32 s2, vcc_lo
	s_cbranch_execz .LBB10_102
; %bb.104:                              ;   in Loop: Header=BB10_103 Depth=1
	ds_load_2addr_b32 v[4:5], v3 offset1:1
	ds_load_2addr_b32 v[6:7], v3 offset0:2 offset1:3
	v_lshlrev_b64 v[8:9], 3, v[1:2]
	s_waitcnt lgkmcnt(1)
	v_add_nc_u32_e32 v10, v5, v4
	s_delay_alu instid0(VALU_DEP_2) | instskip(NEXT) | instid1(VALU_DEP_1)
	v_add_co_u32 v4, s0, s18, v8
	v_add_co_ci_u32_e64 v5, s0, s19, v9, s0
	s_waitcnt lgkmcnt(0)
	s_delay_alu instid0(VALU_DEP_3)
	v_add3_u32 v6, v10, v6, v7
	v_mov_b32_e32 v7, v2
	global_atomic_add_u64 v[4:5], v[6:7], off
	s_branch .LBB10_102
.LBB10_105:
	s_set_inst_prefetch_distance 0x2
	s_mov_b32 s0, 0
.LBB10_106:
	s_delay_alu instid0(SALU_CYCLE_1)
	s_and_b32 vcc_lo, exec_lo, s0
	s_cbranch_vccz .LBB10_154
; %bb.107:
	v_add_co_u32 v27, s0, s16, v35
	s_delay_alu instid0(VALU_DEP_1)
	v_add_co_ci_u32_e64 v28, null, s17, 0, s0
	global_load_b64 v[1:2], v35, s[16:17] offset:2048
	v_add_co_u32 v3, vcc_lo, 0x1000, v27
	v_add_co_ci_u32_e32 v4, vcc_lo, 0, v28, vcc_lo
	v_add_co_u32 v5, vcc_lo, v27, 0x2000
	v_add_co_ci_u32_e32 v6, vcc_lo, 0, v28, vcc_lo
	;; [unrolled: 2-line block ×6, first 2 shown]
	s_clause 0x7
	global_load_b64 v[19:20], v[5:6], off offset:-4096
	global_load_b64 v[15:16], v[5:6], off
	global_load_b64 v[9:10], v[7:8], off offset:-4096
	global_load_b64 v[7:8], v[7:8], off
	global_load_b64 v[23:24], v[3:4], off offset:2048
	global_load_b64 v[21:22], v[11:12], off offset:2048
	;; [unrolled: 1-line block ×4, first 2 shown]
	v_add_co_u32 v3, vcc_lo, v27, 0x6000
	v_add_co_ci_u32_e32 v4, vcc_lo, 0, v28, vcc_lo
	v_add_co_u32 v5, vcc_lo, 0x5000, v27
	v_add_co_ci_u32_e32 v6, vcc_lo, 0, v28, vcc_lo
	;; [unrolled: 2-line block ×4, first 2 shown]
	s_clause 0x6
	global_load_b64 v[25:26], v[3:4], off offset:-4096
	global_load_b64 v[31:32], v35, s[16:17]
	global_load_b64 v[27:28], v[3:4], off
	global_load_b64 v[29:30], v[5:6], off offset:2048
	global_load_b64 v[11:12], v[11:12], off offset:2048
	global_load_b64 v[5:6], v[33:34], off
	global_load_b64 v[3:4], v[33:34], off offset:2048
	s_cmp_eq_u32 s24, 0
	v_or_b32_e32 v37, 0xffffff00, v0
	s_cselect_b32 s0, -1, 0
	s_cmp_eq_u32 s25, 64
	v_lshlrev_b32_e32 v36, 2, v0
	s_cselect_b32 s1, -1, 0
	s_delay_alu instid0(SALU_CYCLE_1)
	s_and_b32 s1, s0, s1
	s_mov_b32 s0, 0
	s_and_b32 vcc_lo, exec_lo, s1
	s_mov_b32 s1, -1
	s_cbranch_vccnz .LBB10_149
; %bb.108:
	v_or_b32_e32 v33, 0xffffff00, v0
	v_lshlrev_b32_e32 v34, 2, v0
	v_mov_b32_e32 v38, 0
.LBB10_109:                             ; =>This Inner Loop Header: Depth=1
	s_delay_alu instid0(VALU_DEP_3) | instskip(SKIP_4) | instid1(SALU_CYCLE_1)
	v_add_nc_u32_e32 v33, 0x100, v33
	ds_store_b32 v34, v38
	v_add_nc_u32_e32 v34, 0x400, v34
	v_cmp_lt_u32_e32 vcc_lo, 0x1eff, v33
	s_or_b32 s0, vcc_lo, s0
	s_and_not1_b32 exec_lo, exec_lo, s0
	s_cbranch_execnz .LBB10_109
; %bb.110:
	s_or_b32 exec_lo, exec_lo, s0
	s_cmp_gt_u32 s25, s24
	s_waitcnt vmcnt(0) lgkmcnt(0)
	s_waitcnt_vscnt null, 0x0
	s_cselect_b32 s0, -1, 0
	s_cmp_le_u32 s25, s24
	s_barrier
	buffer_gl0_inv
	s_cbranch_scc1 .LBB10_143
; %bb.111:
	v_and_b32_e32 v33, 3, v0
	v_xor_b32_e32 v34, 0x7fffffff, v32
	s_sub_i32 s1, s25, s24
	s_mov_b32 s3, s24
	s_mov_b32 s2, s1
	v_dual_mov_b32 v39, 1 :: v_dual_lshlrev_b32 v38, 2, v33
	v_not_b32_e32 v33, v31
	s_delay_alu instid0(VALU_DEP_2)
	v_mov_b32_e32 v40, v38
.LBB10_112:                             ; =>This Inner Loop Header: Depth=1
	s_delay_alu instid0(VALU_DEP_2) | instskip(SKIP_4) | instid1(VALU_DEP_1)
	v_lshrrev_b64 v[41:42], s3, v[33:34]
	s_min_u32 s4, s2, 8
	s_add_i32 s3, s3, 8
	s_add_i32 s2, s2, -8
	s_cmp_lt_u32 s3, s25
	v_bfe_u32 v41, v41, 0, s4
	s_delay_alu instid0(VALU_DEP_1)
	v_lshl_add_u32 v41, v41, 4, v40
	v_add_nc_u32_e32 v40, 0x1000, v40
	ds_add_u32 v41, v39
	s_cbranch_scc1 .LBB10_112
; %bb.113:
	v_xor_b32_e32 v34, 0x7fffffff, v2
	v_not_b32_e32 v33, v1
	v_dual_mov_b32 v39, 1 :: v_dual_mov_b32 v40, v38
	s_mov_b32 s2, s1
	s_mov_b32 s3, s24
.LBB10_114:                             ; =>This Inner Loop Header: Depth=1
	s_delay_alu instid0(VALU_DEP_2) | instid1(SALU_CYCLE_1)
	v_lshrrev_b64 v[41:42], s3, v[33:34]
	s_min_u32 s4, s2, 8
	s_add_i32 s3, s3, 8
	s_add_i32 s2, s2, -8
	s_cmp_lt_u32 s3, s25
	s_delay_alu instid0(VALU_DEP_1) | instskip(NEXT) | instid1(VALU_DEP_1)
	v_bfe_u32 v41, v41, 0, s4
	v_lshl_add_u32 v41, v41, 4, v40
	v_add_nc_u32_e32 v40, 0x1000, v40
	ds_add_u32 v41, v39
	s_cbranch_scc1 .LBB10_114
; %bb.115:
	v_xor_b32_e32 v34, 0x7fffffff, v20
	v_not_b32_e32 v33, v19
	v_dual_mov_b32 v39, 1 :: v_dual_mov_b32 v40, v38
	s_mov_b32 s2, s1
	s_mov_b32 s3, s24
.LBB10_116:                             ; =>This Inner Loop Header: Depth=1
	s_delay_alu instid0(VALU_DEP_2) | instid1(SALU_CYCLE_1)
	v_lshrrev_b64 v[41:42], s3, v[33:34]
	s_min_u32 s4, s2, 8
	s_add_i32 s3, s3, 8
	s_add_i32 s2, s2, -8
	s_cmp_lt_u32 s3, s25
	s_delay_alu instid0(VALU_DEP_1) | instskip(NEXT) | instid1(VALU_DEP_1)
	v_bfe_u32 v41, v41, 0, s4
	v_lshl_add_u32 v41, v41, 4, v40
	v_add_nc_u32_e32 v40, 0x1000, v40
	ds_add_u32 v41, v39
	s_cbranch_scc1 .LBB10_116
	;; [unrolled: 19-line block ×14, first 2 shown]
; %bb.141:
	v_xor_b32_e32 v34, 0x7fffffff, v4
	v_not_b32_e32 v33, v3
	v_mov_b32_e32 v39, 1
	s_mov_b32 s2, s24
.LBB10_142:                             ; =>This Inner Loop Header: Depth=1
	s_delay_alu instid0(VALU_DEP_2) | instid1(SALU_CYCLE_1)
	v_lshrrev_b64 v[40:41], s2, v[33:34]
	s_min_u32 s3, s1, 8
	s_add_i32 s2, s2, 8
	s_add_i32 s1, s1, -8
	s_cmp_lt_u32 s2, s25
	s_delay_alu instid0(VALU_DEP_1) | instskip(NEXT) | instid1(VALU_DEP_1)
	v_bfe_u32 v40, v40, 0, s3
	v_lshl_add_u32 v40, v40, 4, v38
	v_add_nc_u32_e32 v38, 0x1000, v38
	ds_add_u32 v40, v39
	s_cbranch_scc1 .LBB10_142
.LBB10_143:
	s_and_b32 vcc_lo, exec_lo, s0
	s_waitcnt lgkmcnt(0)
	s_barrier
	buffer_gl0_inv
	s_cbranch_vccz .LBB10_148
; %bb.144:
	v_cmp_gt_u32_e32 vcc_lo, 0x100, v0
	v_dual_mov_b32 v33, v0 :: v_dual_lshlrev_b32 v38, 4, v0
	v_mov_b32_e32 v34, 0
	s_set_inst_prefetch_distance 0x1
	s_branch .LBB10_146
	.p2align	6
.LBB10_145:                             ;   in Loop: Header=BB10_146 Depth=1
	s_or_b32 exec_lo, exec_lo, s1
	v_add_nc_u32_e32 v33, 0x100, v33
	v_add_nc_u32_e32 v38, 0x1000, v38
	s_add_i32 s24, s24, 8
	s_delay_alu instid0(SALU_CYCLE_1)
	s_cmp_ge_u32 s24, s25
	s_cbranch_scc1 .LBB10_148
.LBB10_146:                             ; =>This Inner Loop Header: Depth=1
	s_and_saveexec_b32 s1, vcc_lo
	s_cbranch_execz .LBB10_145
; %bb.147:                              ;   in Loop: Header=BB10_146 Depth=1
	ds_load_2addr_b32 v[39:40], v38 offset1:1
	ds_load_2addr_b32 v[41:42], v38 offset0:2 offset1:3
	v_lshlrev_b64 v[43:44], 3, v[33:34]
	s_waitcnt lgkmcnt(1)
	v_add_nc_u32_e32 v45, v40, v39
	s_delay_alu instid0(VALU_DEP_2) | instskip(NEXT) | instid1(VALU_DEP_1)
	v_add_co_u32 v39, s0, s18, v43
	v_add_co_ci_u32_e64 v40, s0, s19, v44, s0
	s_waitcnt lgkmcnt(0)
	s_delay_alu instid0(VALU_DEP_3)
	v_add3_u32 v41, v45, v41, v42
	v_mov_b32_e32 v42, v34
	global_atomic_add_u64 v[39:40], v[41:42], off
	s_branch .LBB10_145
.LBB10_148:
	s_set_inst_prefetch_distance 0x2
	s_mov_b32 s1, 0
.LBB10_149:
	s_delay_alu instid0(SALU_CYCLE_1)
	s_and_b32 vcc_lo, exec_lo, s1
	s_cbranch_vccz .LBB10_154
; %bb.150:
	v_dual_mov_b32 v33, 0 :: v_dual_mov_b32 v34, v36
	s_mov_b32 s0, 0
.LBB10_151:                             ; =>This Inner Loop Header: Depth=1
	v_add_nc_u32_e32 v37, 0x100, v37
	ds_store_b32 v34, v33
	v_add_nc_u32_e32 v34, 0x400, v34
	v_cmp_lt_u32_e32 vcc_lo, 0x1eff, v37
	s_or_b32 s0, vcc_lo, s0
	s_delay_alu instid0(SALU_CYCLE_1)
	s_and_not1_b32 exec_lo, exec_lo, s0
	s_cbranch_execnz .LBB10_151
; %bb.152:
	s_or_b32 exec_lo, exec_lo, s0
	s_waitcnt vmcnt(5)
	v_xor_b32_e32 v31, -1, v31
	v_xor_b32_e32 v33, 0x7fffffff, v2
	v_xor_b32_e32 v34, -1, v1
	v_and_b32_e32 v1, 3, v0
	v_xor_b32_e32 v43, -1, v7
	v_lshlrev_b32_e32 v2, 2, v31
	s_waitcnt vmcnt(2)
	v_xor_b32_e32 v7, 0x7fffffff, v12
	v_lshrrev_b32_e32 v12, 6, v31
	v_xor_b32_e32 v37, 0x7fffffff, v16
	v_xor_b32_e32 v16, -1, v25
	v_lshrrev_b32_e32 v25, 14, v31
	v_and_or_b32 v2, 0x3fc, v2, v1
	v_xor_b32_e32 v42, 0x7fffffff, v8
	v_xor_b32_e32 v8, -1, v11
	v_and_or_b32 v11, 0x3fc, v12, v1
	v_and_or_b32 v12, 0x3fc, v25, v1
	v_dual_mov_b32 v2, 1 :: v_dual_lshlrev_b32 v25, 2, v2
	v_xor_b32_e32 v32, 0x7fffffff, v32
	s_delay_alu instid0(VALU_DEP_4) | instskip(NEXT) | instid1(VALU_DEP_4)
	v_lshlrev_b32_e32 v11, 2, v11
	v_lshlrev_b32_e32 v12, 2, v12
	s_waitcnt vmcnt(0) lgkmcnt(0)
	s_waitcnt_vscnt null, 0x0
	s_barrier
	buffer_gl0_inv
	ds_add_u32 v25, v2
	ds_add_u32 v11, v2 offset:4096
	ds_add_u32 v12, v2 offset:8192
	v_lshrrev_b32_e32 v11, 22, v31
	v_alignbit_b32 v12, v32, v31, 30
	v_lshrrev_b32_e32 v25, 6, v32
	v_xor_b32_e32 v38, -1, v15
	v_xor_b32_e32 v15, 0x7fffffff, v26
	v_lshrrev_b32_e32 v26, 14, v32
	v_xor_b32_e32 v39, 0x7fffffff, v10
	v_xor_b32_e32 v10, -1, v27
	v_lshrrev_b32_e32 v27, 22, v32
	v_and_or_b32 v11, 0x3fc, v11, v1
	v_and_or_b32 v12, 0x3fc, v12, v1
	;; [unrolled: 1-line block ×5, first 2 shown]
	v_lshlrev_b32_e32 v11, 2, v11
	v_lshlrev_b32_e32 v12, 2, v12
	;; [unrolled: 1-line block ×5, first 2 shown]
	ds_add_u32 v11, v2 offset:12288
	ds_add_u32 v12, v2 offset:16384
	;; [unrolled: 1-line block ×5, first 2 shown]
	v_lshlrev_b32_e32 v11, 2, v34
	v_lshrrev_b32_e32 v12, 6, v34
	v_lshrrev_b32_e32 v25, 14, v34
	;; [unrolled: 1-line block ×3, first 2 shown]
	v_alignbit_b32 v27, v33, v34, 30
	v_and_or_b32 v11, 0x3fc, v11, v1
	v_and_or_b32 v12, 0x3fc, v12, v1
	;; [unrolled: 1-line block ×5, first 2 shown]
	v_lshlrev_b32_e32 v11, 2, v11
	v_lshlrev_b32_e32 v12, 2, v12
	v_lshlrev_b32_e32 v25, 2, v25
	v_xor_b32_e32 v19, -1, v19
	v_lshlrev_b32_e32 v26, 2, v26
	v_lshlrev_b32_e32 v27, 2, v27
	ds_add_u32 v11, v2
	ds_add_u32 v12, v2 offset:4096
	ds_add_u32 v25, v2 offset:8192
	;; [unrolled: 1-line block ×4, first 2 shown]
	v_lshrrev_b32_e32 v11, 6, v33
	v_lshrrev_b32_e32 v12, 14, v33
	v_lshrrev_b32_e32 v25, 22, v33
	v_lshlrev_b32_e32 v26, 2, v19
	v_lshrrev_b32_e32 v27, 6, v19
	v_and_or_b32 v11, 0x3fc, v11, v1
	v_and_or_b32 v12, 0x3fc, v12, v1
	;; [unrolled: 1-line block ×5, first 2 shown]
	v_lshlrev_b32_e32 v11, 2, v11
	v_lshlrev_b32_e32 v12, 2, v12
	v_xor_b32_e32 v20, 0x7fffffff, v20
	v_lshlrev_b32_e32 v25, 2, v25
	v_lshlrev_b32_e32 v26, 2, v26
	;; [unrolled: 1-line block ×3, first 2 shown]
	ds_add_u32 v11, v2 offset:20480
	ds_add_u32 v12, v2 offset:24576
	;; [unrolled: 1-line block ×3, first 2 shown]
	ds_add_u32 v26, v2
	ds_add_u32 v27, v2 offset:4096
	v_lshrrev_b32_e32 v11, 14, v19
	v_lshrrev_b32_e32 v12, 22, v19
	v_alignbit_b32 v19, v20, v19, 30
	v_lshrrev_b32_e32 v25, 6, v20
	v_lshrrev_b32_e32 v26, 14, v20
	v_and_or_b32 v11, 0x3fc, v11, v1
	v_and_or_b32 v12, 0x3fc, v12, v1
	;; [unrolled: 1-line block ×5, first 2 shown]
	v_lshlrev_b32_e32 v11, 2, v11
	v_xor_b32_e32 v23, -1, v23
	v_lshlrev_b32_e32 v12, 2, v12
	v_lshlrev_b32_e32 v19, 2, v19
	;; [unrolled: 1-line block ×4, first 2 shown]
	ds_add_u32 v11, v2 offset:8192
	ds_add_u32 v12, v2 offset:12288
	;; [unrolled: 1-line block ×5, first 2 shown]
	v_lshrrev_b32_e32 v11, 22, v20
	v_lshlrev_b32_e32 v12, 2, v23
	v_lshrrev_b32_e32 v19, 6, v23
	v_lshrrev_b32_e32 v20, 14, v23
	;; [unrolled: 1-line block ×3, first 2 shown]
	v_and_or_b32 v11, 0x3fc, v11, v1
	v_and_or_b32 v12, 0x3fc, v12, v1
	;; [unrolled: 1-line block ×5, first 2 shown]
	v_xor_b32_e32 v24, 0x7fffffff, v24
	v_lshlrev_b32_e32 v11, 2, v11
	v_lshlrev_b32_e32 v12, 2, v12
	;; [unrolled: 1-line block ×5, first 2 shown]
	ds_add_u32 v11, v2 offset:28672
	ds_add_u32 v12, v2
	ds_add_u32 v19, v2 offset:4096
	ds_add_u32 v20, v2 offset:8192
	;; [unrolled: 1-line block ×3, first 2 shown]
	v_alignbit_b32 v11, v24, v23, 30
	v_lshrrev_b32_e32 v12, 6, v24
	v_lshrrev_b32_e32 v19, 14, v24
	;; [unrolled: 1-line block ×3, first 2 shown]
	v_lshlrev_b32_e32 v23, 2, v38
	v_and_or_b32 v11, 0x3fc, v11, v1
	v_and_or_b32 v12, 0x3fc, v12, v1
	;; [unrolled: 1-line block ×5, first 2 shown]
	v_lshlrev_b32_e32 v11, 2, v11
	v_lshlrev_b32_e32 v12, 2, v12
	;; [unrolled: 1-line block ×5, first 2 shown]
	ds_add_u32 v11, v2 offset:16384
	ds_add_u32 v12, v2 offset:20480
	ds_add_u32 v19, v2 offset:24576
	ds_add_u32 v20, v2 offset:28672
	ds_add_u32 v23, v2
	v_lshrrev_b32_e32 v11, 6, v38
	v_lshrrev_b32_e32 v12, 14, v38
	;; [unrolled: 1-line block ×3, first 2 shown]
	v_alignbit_b32 v20, v37, v38, 30
	v_lshrrev_b32_e32 v23, 6, v37
	v_and_or_b32 v11, 0x3fc, v11, v1
	v_and_or_b32 v12, 0x3fc, v12, v1
	;; [unrolled: 1-line block ×5, first 2 shown]
	v_lshlrev_b32_e32 v11, 2, v11
	v_lshlrev_b32_e32 v12, 2, v12
	v_xor_b32_e32 v21, -1, v21
	v_lshlrev_b32_e32 v19, 2, v19
	v_lshlrev_b32_e32 v20, 2, v20
	v_lshlrev_b32_e32 v23, 2, v23
	ds_add_u32 v11, v2 offset:4096
	ds_add_u32 v12, v2 offset:8192
	;; [unrolled: 1-line block ×5, first 2 shown]
	v_lshrrev_b32_e32 v11, 14, v37
	v_lshrrev_b32_e32 v12, 22, v37
	v_lshlrev_b32_e32 v19, 2, v21
	v_lshrrev_b32_e32 v20, 6, v21
	v_lshrrev_b32_e32 v23, 14, v21
	v_and_or_b32 v11, 0x3fc, v11, v1
	v_and_or_b32 v12, 0x3fc, v12, v1
	;; [unrolled: 1-line block ×5, first 2 shown]
	v_lshlrev_b32_e32 v11, 2, v11
	v_xor_b32_e32 v22, 0x7fffffff, v22
	v_lshlrev_b32_e32 v12, 2, v12
	v_lshlrev_b32_e32 v19, 2, v19
	;; [unrolled: 1-line block ×4, first 2 shown]
	ds_add_u32 v11, v2 offset:24576
	ds_add_u32 v12, v2 offset:28672
	ds_add_u32 v19, v2
	ds_add_u32 v20, v2 offset:4096
	ds_add_u32 v23, v2 offset:8192
	v_lshrrev_b32_e32 v11, 22, v21
	v_alignbit_b32 v12, v22, v21, 30
	v_lshrrev_b32_e32 v19, 6, v22
	v_lshrrev_b32_e32 v20, 14, v22
	;; [unrolled: 1-line block ×3, first 2 shown]
	v_and_or_b32 v11, 0x3fc, v11, v1
	v_and_or_b32 v12, 0x3fc, v12, v1
	;; [unrolled: 1-line block ×5, first 2 shown]
	v_xor_b32_e32 v40, -1, v9
	v_lshlrev_b32_e32 v11, 2, v11
	v_lshlrev_b32_e32 v12, 2, v12
	;; [unrolled: 1-line block ×5, first 2 shown]
	ds_add_u32 v11, v2 offset:12288
	ds_add_u32 v12, v2 offset:16384
	;; [unrolled: 1-line block ×5, first 2 shown]
	v_lshlrev_b32_e32 v11, 2, v40
	v_lshrrev_b32_e32 v12, 6, v40
	v_lshrrev_b32_e32 v19, 14, v40
	;; [unrolled: 1-line block ×3, first 2 shown]
	v_alignbit_b32 v21, v39, v40, 30
	v_and_or_b32 v11, 0x3fc, v11, v1
	v_and_or_b32 v12, 0x3fc, v12, v1
	v_and_or_b32 v19, 0x3fc, v19, v1
	v_and_or_b32 v20, 0x3fc, v20, v1
	v_and_or_b32 v21, 0x3fc, v21, v1
	v_lshlrev_b32_e32 v11, 2, v11
	v_lshlrev_b32_e32 v12, 2, v12
	;; [unrolled: 1-line block ×3, first 2 shown]
	v_xor_b32_e32 v41, -1, v17
	v_lshlrev_b32_e32 v20, 2, v20
	v_lshlrev_b32_e32 v21, 2, v21
	ds_add_u32 v11, v2
	ds_add_u32 v12, v2 offset:4096
	ds_add_u32 v19, v2 offset:8192
	;; [unrolled: 1-line block ×4, first 2 shown]
	v_lshrrev_b32_e32 v11, 6, v39
	v_lshrrev_b32_e32 v12, 14, v39
	;; [unrolled: 1-line block ×3, first 2 shown]
	v_lshlrev_b32_e32 v20, 2, v41
	v_lshrrev_b32_e32 v21, 6, v41
	v_and_or_b32 v11, 0x3fc, v11, v1
	v_and_or_b32 v12, 0x3fc, v12, v1
	;; [unrolled: 1-line block ×5, first 2 shown]
	v_lshlrev_b32_e32 v11, 2, v11
	v_lshlrev_b32_e32 v12, 2, v12
	v_xor_b32_e32 v18, 0x7fffffff, v18
	v_lshlrev_b32_e32 v19, 2, v19
	v_lshlrev_b32_e32 v20, 2, v20
	;; [unrolled: 1-line block ×3, first 2 shown]
	ds_add_u32 v11, v2 offset:20480
	ds_add_u32 v12, v2 offset:24576
	;; [unrolled: 1-line block ×3, first 2 shown]
	ds_add_u32 v20, v2
	ds_add_u32 v21, v2 offset:4096
	v_lshrrev_b32_e32 v11, 14, v41
	v_lshrrev_b32_e32 v12, 22, v41
	v_alignbit_b32 v19, v18, v41, 30
	v_lshrrev_b32_e32 v20, 6, v18
	v_lshrrev_b32_e32 v21, 14, v18
	v_and_or_b32 v11, 0x3fc, v11, v1
	v_and_or_b32 v12, 0x3fc, v12, v1
	;; [unrolled: 1-line block ×5, first 2 shown]
	v_lshlrev_b32_e32 v11, 2, v11
	v_lshlrev_b32_e32 v12, 2, v12
	;; [unrolled: 1-line block ×5, first 2 shown]
	ds_add_u32 v11, v2 offset:8192
	ds_add_u32 v12, v2 offset:12288
	;; [unrolled: 1-line block ×5, first 2 shown]
	v_lshrrev_b32_e32 v11, 22, v18
	v_lshlrev_b32_e32 v12, 2, v43
	v_lshrrev_b32_e32 v18, 6, v43
	v_lshrrev_b32_e32 v19, 14, v43
	;; [unrolled: 1-line block ×3, first 2 shown]
	v_and_or_b32 v11, 0x3fc, v11, v1
	v_and_or_b32 v12, 0x3fc, v12, v1
	;; [unrolled: 1-line block ×5, first 2 shown]
	v_lshlrev_b32_e32 v11, 2, v11
	v_lshlrev_b32_e32 v12, 2, v12
	;; [unrolled: 1-line block ×4, first 2 shown]
	v_xor_b32_e32 v44, -1, v13
	v_lshlrev_b32_e32 v20, 2, v20
	ds_add_u32 v11, v2 offset:28672
	ds_add_u32 v12, v2
	ds_add_u32 v18, v2 offset:4096
	ds_add_u32 v19, v2 offset:8192
	;; [unrolled: 1-line block ×3, first 2 shown]
	v_alignbit_b32 v11, v42, v43, 30
	v_lshrrev_b32_e32 v12, 6, v42
	v_lshrrev_b32_e32 v18, 14, v42
	;; [unrolled: 1-line block ×3, first 2 shown]
	v_lshlrev_b32_e32 v20, 2, v44
	v_and_or_b32 v11, 0x3fc, v11, v1
	v_and_or_b32 v12, 0x3fc, v12, v1
	;; [unrolled: 1-line block ×5, first 2 shown]
	v_lshlrev_b32_e32 v11, 2, v11
	v_lshlrev_b32_e32 v12, 2, v12
	;; [unrolled: 1-line block ×3, first 2 shown]
	v_xor_b32_e32 v17, 0x7fffffff, v14
	v_lshlrev_b32_e32 v19, 2, v19
	v_lshlrev_b32_e32 v20, 2, v20
	ds_add_u32 v11, v2 offset:16384
	ds_add_u32 v12, v2 offset:20480
	;; [unrolled: 1-line block ×4, first 2 shown]
	ds_add_u32 v20, v2
	v_lshrrev_b32_e32 v11, 6, v44
	v_lshrrev_b32_e32 v12, 14, v44
	;; [unrolled: 1-line block ×3, first 2 shown]
	v_alignbit_b32 v19, v17, v44, 30
	v_lshrrev_b32_e32 v20, 6, v17
	v_and_or_b32 v11, 0x3fc, v11, v1
	v_and_or_b32 v12, 0x3fc, v12, v1
	;; [unrolled: 1-line block ×5, first 2 shown]
	v_lshlrev_b32_e32 v11, 2, v11
	v_lshlrev_b32_e32 v12, 2, v12
	;; [unrolled: 1-line block ×5, first 2 shown]
	ds_add_u32 v11, v2 offset:4096
	ds_add_u32 v12, v2 offset:8192
	;; [unrolled: 1-line block ×5, first 2 shown]
	v_lshrrev_b32_e32 v11, 14, v17
	v_lshrrev_b32_e32 v12, 22, v17
	v_lshlrev_b32_e32 v17, 2, v16
	v_lshrrev_b32_e32 v18, 6, v16
	v_lshrrev_b32_e32 v19, 14, v16
	v_and_or_b32 v11, 0x3fc, v11, v1
	v_and_or_b32 v12, 0x3fc, v12, v1
	;; [unrolled: 1-line block ×5, first 2 shown]
	v_lshlrev_b32_e32 v11, 2, v11
	v_lshlrev_b32_e32 v12, 2, v12
	;; [unrolled: 1-line block ×5, first 2 shown]
	ds_add_u32 v11, v2 offset:24576
	ds_add_u32 v12, v2 offset:28672
	ds_add_u32 v17, v2
	ds_add_u32 v18, v2 offset:4096
	ds_add_u32 v19, v2 offset:8192
	v_lshrrev_b32_e32 v11, 22, v16
	v_alignbit_b32 v12, v15, v16, 30
	v_lshrrev_b32_e32 v16, 6, v15
	v_lshrrev_b32_e32 v17, 14, v15
	;; [unrolled: 1-line block ×3, first 2 shown]
	v_and_or_b32 v11, 0x3fc, v11, v1
	v_and_or_b32 v12, 0x3fc, v12, v1
	;; [unrolled: 1-line block ×5, first 2 shown]
	v_xor_b32_e32 v14, -1, v29
	v_lshlrev_b32_e32 v11, 2, v11
	v_lshlrev_b32_e32 v12, 2, v12
	;; [unrolled: 1-line block ×4, first 2 shown]
	v_xor_b32_e32 v13, 0x7fffffff, v30
	v_lshlrev_b32_e32 v15, 2, v15
	ds_add_u32 v11, v2 offset:12288
	ds_add_u32 v12, v2 offset:16384
	ds_add_u32 v16, v2 offset:20480
	ds_add_u32 v17, v2 offset:24576
	ds_add_u32 v15, v2 offset:28672
	v_lshlrev_b32_e32 v11, 2, v14
	v_lshrrev_b32_e32 v12, 6, v14
	v_lshrrev_b32_e32 v15, 14, v14
	;; [unrolled: 1-line block ×3, first 2 shown]
	v_alignbit_b32 v14, v13, v14, 30
	v_and_or_b32 v11, 0x3fc, v11, v1
	v_and_or_b32 v12, 0x3fc, v12, v1
	;; [unrolled: 1-line block ×5, first 2 shown]
	v_lshlrev_b32_e32 v11, 2, v11
	v_lshlrev_b32_e32 v12, 2, v12
	v_lshlrev_b32_e32 v15, 2, v15
	v_lshlrev_b32_e32 v16, 2, v16
	v_lshlrev_b32_e32 v14, 2, v14
	ds_add_u32 v11, v2
	ds_add_u32 v12, v2 offset:4096
	ds_add_u32 v15, v2 offset:8192
	ds_add_u32 v16, v2 offset:12288
	ds_add_u32 v14, v2 offset:16384
	v_lshrrev_b32_e32 v11, 6, v13
	v_lshrrev_b32_e32 v12, 14, v13
	;; [unrolled: 1-line block ×3, first 2 shown]
	v_lshlrev_b32_e32 v14, 2, v10
	v_lshrrev_b32_e32 v15, 6, v10
	v_and_or_b32 v11, 0x3fc, v11, v1
	v_and_or_b32 v12, 0x3fc, v12, v1
	;; [unrolled: 1-line block ×5, first 2 shown]
	v_lshlrev_b32_e32 v11, 2, v11
	v_lshlrev_b32_e32 v12, 2, v12
	v_xor_b32_e32 v9, 0x7fffffff, v28
	v_lshlrev_b32_e32 v13, 2, v13
	v_lshlrev_b32_e32 v14, 2, v14
	;; [unrolled: 1-line block ×3, first 2 shown]
	ds_add_u32 v11, v2 offset:20480
	ds_add_u32 v12, v2 offset:24576
	;; [unrolled: 1-line block ×3, first 2 shown]
	ds_add_u32 v14, v2
	ds_add_u32 v15, v2 offset:4096
	v_lshrrev_b32_e32 v11, 14, v10
	v_lshrrev_b32_e32 v12, 22, v10
	v_alignbit_b32 v10, v9, v10, 30
	v_lshrrev_b32_e32 v13, 6, v9
	v_lshrrev_b32_e32 v14, 14, v9
	v_and_or_b32 v11, 0x3fc, v11, v1
	v_and_or_b32 v12, 0x3fc, v12, v1
	;; [unrolled: 1-line block ×5, first 2 shown]
	v_lshlrev_b32_e32 v11, 2, v11
	v_lshlrev_b32_e32 v12, 2, v12
	;; [unrolled: 1-line block ×5, first 2 shown]
	v_lshrrev_b32_e32 v9, 22, v9
	ds_add_u32 v11, v2 offset:8192
	ds_add_u32 v12, v2 offset:12288
	;; [unrolled: 1-line block ×5, first 2 shown]
	v_lshlrev_b32_e32 v10, 2, v8
	v_lshrrev_b32_e32 v11, 6, v8
	v_lshrrev_b32_e32 v12, 14, v8
	;; [unrolled: 1-line block ×3, first 2 shown]
	v_and_or_b32 v9, 0x3fc, v9, v1
	v_and_or_b32 v10, 0x3fc, v10, v1
	;; [unrolled: 1-line block ×5, first 2 shown]
	v_lshlrev_b32_e32 v9, 2, v9
	v_lshlrev_b32_e32 v10, 2, v10
	;; [unrolled: 1-line block ×3, first 2 shown]
	v_xor_b32_e32 v5, -1, v5
	v_lshlrev_b32_e32 v12, 2, v12
	v_lshlrev_b32_e32 v13, 2, v13
	v_alignbit_b32 v8, v7, v8, 30
	ds_add_u32 v9, v2 offset:28672
	ds_add_u32 v10, v2
	ds_add_u32 v11, v2 offset:4096
	ds_add_u32 v12, v2 offset:8192
	;; [unrolled: 1-line block ×3, first 2 shown]
	v_lshrrev_b32_e32 v9, 6, v7
	v_lshrrev_b32_e32 v10, 14, v7
	;; [unrolled: 1-line block ×3, first 2 shown]
	v_lshlrev_b32_e32 v11, 2, v5
	v_and_or_b32 v8, 0x3fc, v8, v1
	v_and_or_b32 v9, 0x3fc, v9, v1
	v_and_or_b32 v10, 0x3fc, v10, v1
	v_and_or_b32 v7, 0x3fc, v7, v1
	v_and_or_b32 v11, 0x3fc, v11, v1
	v_lshlrev_b32_e32 v8, 2, v8
	v_lshlrev_b32_e32 v9, 2, v9
	;; [unrolled: 1-line block ×3, first 2 shown]
	v_xor_b32_e32 v6, 0x7fffffff, v6
	v_lshlrev_b32_e32 v7, 2, v7
	v_lshlrev_b32_e32 v11, 2, v11
	ds_add_u32 v8, v2 offset:16384
	ds_add_u32 v9, v2 offset:20480
	;; [unrolled: 1-line block ×4, first 2 shown]
	ds_add_u32 v11, v2
	v_lshrrev_b32_e32 v7, 6, v5
	v_lshrrev_b32_e32 v8, 14, v5
	;; [unrolled: 1-line block ×3, first 2 shown]
	v_alignbit_b32 v5, v6, v5, 30
	v_lshrrev_b32_e32 v10, 6, v6
	v_and_or_b32 v7, 0x3fc, v7, v1
	v_and_or_b32 v8, 0x3fc, v8, v1
	;; [unrolled: 1-line block ×5, first 2 shown]
	v_lshlrev_b32_e32 v7, 2, v7
	v_lshlrev_b32_e32 v8, 2, v8
	v_xor_b32_e32 v3, -1, v3
	v_lshlrev_b32_e32 v9, 2, v9
	v_lshlrev_b32_e32 v5, 2, v5
	;; [unrolled: 1-line block ×3, first 2 shown]
	ds_add_u32 v7, v2 offset:4096
	ds_add_u32 v8, v2 offset:8192
	;; [unrolled: 1-line block ×5, first 2 shown]
	v_lshrrev_b32_e32 v5, 14, v6
	v_lshrrev_b32_e32 v6, 22, v6
	v_lshlrev_b32_e32 v7, 2, v3
	v_lshrrev_b32_e32 v8, 6, v3
	v_lshrrev_b32_e32 v9, 14, v3
	v_and_or_b32 v5, 0x3fc, v5, v1
	v_and_or_b32 v6, 0x3fc, v6, v1
	;; [unrolled: 1-line block ×5, first 2 shown]
	v_lshlrev_b32_e32 v5, 2, v5
	v_xor_b32_e32 v4, 0x7fffffff, v4
	v_lshlrev_b32_e32 v6, 2, v6
	v_lshlrev_b32_e32 v7, 2, v7
	;; [unrolled: 1-line block ×4, first 2 shown]
	ds_add_u32 v5, v2 offset:24576
	ds_add_u32 v6, v2 offset:28672
	ds_add_u32 v7, v2
	ds_add_u32 v8, v2 offset:4096
	ds_add_u32 v9, v2 offset:8192
	v_lshrrev_b32_e32 v5, 22, v3
	v_alignbit_b32 v3, v4, v3, 30
	v_lshrrev_b32_e32 v6, 6, v4
	v_lshrrev_b32_e32 v7, 14, v4
	;; [unrolled: 1-line block ×3, first 2 shown]
	v_and_or_b32 v5, 0x3fc, v5, v1
	v_and_or_b32 v3, 0x3fc, v3, v1
	;; [unrolled: 1-line block ×5, first 2 shown]
	v_lshlrev_b32_e32 v4, 2, v5
	v_lshlrev_b32_e32 v3, 2, v3
	;; [unrolled: 1-line block ×5, first 2 shown]
	ds_add_u32 v4, v2 offset:12288
	ds_add_u32 v3, v2 offset:16384
	;; [unrolled: 1-line block ×5, first 2 shown]
	s_waitcnt lgkmcnt(0)
	s_barrier
	buffer_gl0_inv
	s_mov_b32 s0, exec_lo
	v_cmpx_gt_u32_e32 0x100, v0
	s_cbranch_execz .LBB10_154
; %bb.153:
	v_lshlrev_b32_e32 v6, 2, v36
	ds_load_2addr_b32 v[0:1], v6 offset1:1
	ds_load_2addr_b32 v[2:3], v6 offset0:2 offset1:3
	s_waitcnt lgkmcnt(1)
	v_dual_mov_b32 v1, 0 :: v_dual_add_nc_u32 v0, v1, v0
	v_add_nc_u32_e32 v4, 0x1008, v6
	s_waitcnt lgkmcnt(0)
	s_delay_alu instid0(VALU_DEP_2)
	v_add3_u32 v0, v0, v2, v3
	v_or_b32_e32 v2, 0x1000, v6
	global_atomic_add_u64 v35, v[0:1], s[18:19]
	ds_load_2addr_b32 v[2:3], v2 offset1:1
	ds_load_2addr_b32 v[4:5], v4 offset1:1
	s_waitcnt lgkmcnt(1)
	v_add_nc_u32_e32 v0, v3, v2
	v_or_b32_e32 v2, 0x2000, v6
	s_waitcnt lgkmcnt(0)
	s_delay_alu instid0(VALU_DEP_2)
	v_add3_u32 v0, v0, v4, v5
	v_add_nc_u32_e32 v4, 0x2008, v6
	global_atomic_add_u64 v35, v[0:1], s[18:19] offset:2048
	ds_load_2addr_b32 v[2:3], v2 offset1:1
	ds_load_2addr_b32 v[4:5], v4 offset1:1
	s_waitcnt lgkmcnt(1)
	v_add_nc_u32_e32 v0, v3, v2
	v_or_b32_e32 v2, 0x1000, v35
	v_or_b32_e32 v3, 0x3000, v6
	s_waitcnt lgkmcnt(0)
	s_delay_alu instid0(VALU_DEP_3)
	v_add3_u32 v0, v0, v4, v5
	v_add_nc_u32_e32 v4, 0x3008, v6
	global_atomic_add_u64 v2, v[0:1], s[18:19]
	ds_load_2addr_b32 v[2:3], v3 offset1:1
	ds_load_2addr_b32 v[4:5], v4 offset1:1
	s_waitcnt lgkmcnt(1)
	v_add_nc_u32_e32 v0, v3, v2
	v_or_b32_e32 v2, 0x1800, v35
	v_or_b32_e32 v3, 0x4000, v6
	s_waitcnt lgkmcnt(0)
	s_delay_alu instid0(VALU_DEP_3)
	v_add3_u32 v0, v0, v4, v5
	v_add_nc_u32_e32 v4, 0x4008, v6
	global_atomic_add_u64 v2, v[0:1], s[18:19]
	;; [unrolled: 11-line block ×5, first 2 shown]
	ds_load_2addr_b32 v[2:3], v3 offset1:1
	ds_load_2addr_b32 v[4:5], v4 offset1:1
	s_waitcnt lgkmcnt(1)
	v_add_nc_u32_e32 v0, v3, v2
	v_or_b32_e32 v2, 0x3800, v35
	s_waitcnt lgkmcnt(0)
	s_delay_alu instid0(VALU_DEP_2)
	v_add3_u32 v0, v0, v4, v5
	global_atomic_add_u64 v2, v[0:1], s[18:19]
.LBB10_154:
	s_nop 0
	s_sendmsg sendmsg(MSG_DEALLOC_VGPRS)
	s_endpgm
	.section	.rodata,"a",@progbits
	.p2align	6, 0x0
	.amdhsa_kernel _ZN7rocprim17ROCPRIM_304000_NS6detail26onesweep_histograms_kernelINS1_34wrapped_radix_sort_onesweep_configINS0_14default_configElN2at4cuda3cub6detail10OpaqueTypeILi1EEEEELb1EPKlmNS0_19identity_decomposerEEEvT1_PT2_SG_SG_T3_jj
		.amdhsa_group_segment_fixed_size 32768
		.amdhsa_private_segment_fixed_size 0
		.amdhsa_kernarg_size 44
		.amdhsa_user_sgpr_count 15
		.amdhsa_user_sgpr_dispatch_ptr 0
		.amdhsa_user_sgpr_queue_ptr 0
		.amdhsa_user_sgpr_kernarg_segment_ptr 1
		.amdhsa_user_sgpr_dispatch_id 0
		.amdhsa_user_sgpr_private_segment_size 0
		.amdhsa_wavefront_size32 1
		.amdhsa_uses_dynamic_stack 0
		.amdhsa_enable_private_segment 0
		.amdhsa_system_sgpr_workgroup_id_x 1
		.amdhsa_system_sgpr_workgroup_id_y 0
		.amdhsa_system_sgpr_workgroup_id_z 0
		.amdhsa_system_sgpr_workgroup_info 0
		.amdhsa_system_vgpr_workitem_id 0
		.amdhsa_next_free_vgpr 46
		.amdhsa_next_free_sgpr 27
		.amdhsa_reserve_vcc 1
		.amdhsa_float_round_mode_32 0
		.amdhsa_float_round_mode_16_64 0
		.amdhsa_float_denorm_mode_32 3
		.amdhsa_float_denorm_mode_16_64 3
		.amdhsa_dx10_clamp 1
		.amdhsa_ieee_mode 1
		.amdhsa_fp16_overflow 0
		.amdhsa_workgroup_processor_mode 1
		.amdhsa_memory_ordered 1
		.amdhsa_forward_progress 0
		.amdhsa_shared_vgpr_count 0
		.amdhsa_exception_fp_ieee_invalid_op 0
		.amdhsa_exception_fp_denorm_src 0
		.amdhsa_exception_fp_ieee_div_zero 0
		.amdhsa_exception_fp_ieee_overflow 0
		.amdhsa_exception_fp_ieee_underflow 0
		.amdhsa_exception_fp_ieee_inexact 0
		.amdhsa_exception_int_div_zero 0
	.end_amdhsa_kernel
	.section	.text._ZN7rocprim17ROCPRIM_304000_NS6detail26onesweep_histograms_kernelINS1_34wrapped_radix_sort_onesweep_configINS0_14default_configElN2at4cuda3cub6detail10OpaqueTypeILi1EEEEELb1EPKlmNS0_19identity_decomposerEEEvT1_PT2_SG_SG_T3_jj,"axG",@progbits,_ZN7rocprim17ROCPRIM_304000_NS6detail26onesweep_histograms_kernelINS1_34wrapped_radix_sort_onesweep_configINS0_14default_configElN2at4cuda3cub6detail10OpaqueTypeILi1EEEEELb1EPKlmNS0_19identity_decomposerEEEvT1_PT2_SG_SG_T3_jj,comdat
.Lfunc_end10:
	.size	_ZN7rocprim17ROCPRIM_304000_NS6detail26onesweep_histograms_kernelINS1_34wrapped_radix_sort_onesweep_configINS0_14default_configElN2at4cuda3cub6detail10OpaqueTypeILi1EEEEELb1EPKlmNS0_19identity_decomposerEEEvT1_PT2_SG_SG_T3_jj, .Lfunc_end10-_ZN7rocprim17ROCPRIM_304000_NS6detail26onesweep_histograms_kernelINS1_34wrapped_radix_sort_onesweep_configINS0_14default_configElN2at4cuda3cub6detail10OpaqueTypeILi1EEEEELb1EPKlmNS0_19identity_decomposerEEEvT1_PT2_SG_SG_T3_jj
                                        ; -- End function
	.section	.AMDGPU.csdata,"",@progbits
; Kernel info:
; codeLenInByte = 9916
; NumSgprs: 29
; NumVgprs: 46
; ScratchSize: 0
; MemoryBound: 0
; FloatMode: 240
; IeeeMode: 1
; LDSByteSize: 32768 bytes/workgroup (compile time only)
; SGPRBlocks: 3
; VGPRBlocks: 5
; NumSGPRsForWavesPerEU: 29
; NumVGPRsForWavesPerEU: 46
; Occupancy: 8
; WaveLimiterHint : 1
; COMPUTE_PGM_RSRC2:SCRATCH_EN: 0
; COMPUTE_PGM_RSRC2:USER_SGPR: 15
; COMPUTE_PGM_RSRC2:TRAP_HANDLER: 0
; COMPUTE_PGM_RSRC2:TGID_X_EN: 1
; COMPUTE_PGM_RSRC2:TGID_Y_EN: 0
; COMPUTE_PGM_RSRC2:TGID_Z_EN: 0
; COMPUTE_PGM_RSRC2:TIDIG_COMP_CNT: 0
	.section	.text._ZN7rocprim17ROCPRIM_304000_NS6detail31onesweep_scan_histograms_kernelINS1_34wrapped_radix_sort_onesweep_configINS0_14default_configElN2at4cuda3cub6detail10OpaqueTypeILi1EEEEEmEEvPT0_,"axG",@progbits,_ZN7rocprim17ROCPRIM_304000_NS6detail31onesweep_scan_histograms_kernelINS1_34wrapped_radix_sort_onesweep_configINS0_14default_configElN2at4cuda3cub6detail10OpaqueTypeILi1EEEEEmEEvPT0_,comdat
	.protected	_ZN7rocprim17ROCPRIM_304000_NS6detail31onesweep_scan_histograms_kernelINS1_34wrapped_radix_sort_onesweep_configINS0_14default_configElN2at4cuda3cub6detail10OpaqueTypeILi1EEEEEmEEvPT0_ ; -- Begin function _ZN7rocprim17ROCPRIM_304000_NS6detail31onesweep_scan_histograms_kernelINS1_34wrapped_radix_sort_onesweep_configINS0_14default_configElN2at4cuda3cub6detail10OpaqueTypeILi1EEEEEmEEvPT0_
	.globl	_ZN7rocprim17ROCPRIM_304000_NS6detail31onesweep_scan_histograms_kernelINS1_34wrapped_radix_sort_onesweep_configINS0_14default_configElN2at4cuda3cub6detail10OpaqueTypeILi1EEEEEmEEvPT0_
	.p2align	8
	.type	_ZN7rocprim17ROCPRIM_304000_NS6detail31onesweep_scan_histograms_kernelINS1_34wrapped_radix_sort_onesweep_configINS0_14default_configElN2at4cuda3cub6detail10OpaqueTypeILi1EEEEEmEEvPT0_,@function
_ZN7rocprim17ROCPRIM_304000_NS6detail31onesweep_scan_histograms_kernelINS1_34wrapped_radix_sort_onesweep_configINS0_14default_configElN2at4cuda3cub6detail10OpaqueTypeILi1EEEEEmEEvPT0_: ; @_ZN7rocprim17ROCPRIM_304000_NS6detail31onesweep_scan_histograms_kernelINS1_34wrapped_radix_sort_onesweep_configINS0_14default_configElN2at4cuda3cub6detail10OpaqueTypeILi1EEEEEmEEvPT0_
; %bb.0:
	s_load_b64 s[0:1], s[0:1], 0x0
	s_lshl_b32 s2, s15, 8
	s_mov_b32 s3, 0
	v_cmp_gt_u32_e32 vcc_lo, 0x100, v0
	s_lshl_b64 s[2:3], s[2:3], 3
	v_lshlrev_b32_e32 v5, 3, v0
                                        ; implicit-def: $vgpr1_vgpr2
	s_waitcnt lgkmcnt(0)
	s_add_u32 s2, s0, s2
	s_addc_u32 s3, s1, s3
	s_and_saveexec_b32 s0, vcc_lo
	s_cbranch_execz .LBB11_2
; %bb.1:
	global_load_b64 v[1:2], v5, s[2:3]
.LBB11_2:
	s_or_b32 exec_lo, exec_lo, s0
	v_mbcnt_lo_u32_b32 v6, -1, 0
	s_waitcnt vmcnt(0)
	v_mov_b32_dpp v8, v1 row_shr:1 row_mask:0xf bank_mask:0xf
	v_mov_b32_dpp v7, v2 row_shr:1 row_mask:0xf bank_mask:0xf
	s_mov_b32 s1, exec_lo
	v_dual_mov_b32 v3, v1 :: v_dual_and_b32 v4, 15, v6
	s_delay_alu instid0(VALU_DEP_1)
	v_cmpx_ne_u32_e32 0, v4
; %bb.3:
	v_add_co_u32 v3, s0, v1, v8
	s_delay_alu instid0(VALU_DEP_1) | instskip(NEXT) | instid1(VALU_DEP_2)
	v_add_co_ci_u32_e64 v2, s0, 0, v2, s0
	v_add_co_u32 v1, s0, 0, v3
	s_delay_alu instid0(VALU_DEP_1)
	v_add_co_ci_u32_e64 v2, s0, v7, v2, s0
; %bb.4:
	s_or_b32 exec_lo, exec_lo, s1
	v_mov_b32_dpp v8, v3 row_shr:2 row_mask:0xf bank_mask:0xf
	s_delay_alu instid0(VALU_DEP_2)
	v_mov_b32_dpp v7, v2 row_shr:2 row_mask:0xf bank_mask:0xf
	s_mov_b32 s1, exec_lo
	v_cmpx_lt_u32_e32 1, v4
; %bb.5:
	s_delay_alu instid0(VALU_DEP_3) | instskip(NEXT) | instid1(VALU_DEP_1)
	v_add_co_u32 v3, s0, v1, v8
	v_add_co_ci_u32_e64 v2, s0, 0, v2, s0
	s_delay_alu instid0(VALU_DEP_2) | instskip(NEXT) | instid1(VALU_DEP_1)
	v_add_co_u32 v1, s0, 0, v3
	v_add_co_ci_u32_e64 v2, s0, v7, v2, s0
; %bb.6:
	s_or_b32 exec_lo, exec_lo, s1
	v_mov_b32_dpp v8, v3 row_shr:4 row_mask:0xf bank_mask:0xf
	s_delay_alu instid0(VALU_DEP_2)
	v_mov_b32_dpp v7, v2 row_shr:4 row_mask:0xf bank_mask:0xf
	s_mov_b32 s1, exec_lo
	v_cmpx_lt_u32_e32 3, v4
; %bb.7:
	s_delay_alu instid0(VALU_DEP_3) | instskip(NEXT) | instid1(VALU_DEP_1)
	v_add_co_u32 v3, s0, v1, v8
	v_add_co_ci_u32_e64 v2, s0, 0, v2, s0
	s_delay_alu instid0(VALU_DEP_2) | instskip(NEXT) | instid1(VALU_DEP_1)
	v_add_co_u32 v1, s0, 0, v3
	v_add_co_ci_u32_e64 v2, s0, v7, v2, s0
; %bb.8:
	s_or_b32 exec_lo, exec_lo, s1
	v_mov_b32_dpp v8, v3 row_shr:8 row_mask:0xf bank_mask:0xf
	s_delay_alu instid0(VALU_DEP_2)
	v_mov_b32_dpp v7, v2 row_shr:8 row_mask:0xf bank_mask:0xf
	s_mov_b32 s1, exec_lo
	v_cmpx_lt_u32_e32 7, v4
; %bb.9:
	s_delay_alu instid0(VALU_DEP_3) | instskip(NEXT) | instid1(VALU_DEP_1)
	v_add_co_u32 v3, s0, v1, v8
	v_add_co_ci_u32_e64 v2, s0, 0, v2, s0
	s_delay_alu instid0(VALU_DEP_2) | instskip(NEXT) | instid1(VALU_DEP_1)
	v_add_co_u32 v1, s0, 0, v3
	v_add_co_ci_u32_e64 v2, s0, v7, v2, s0
; %bb.10:
	s_or_b32 exec_lo, exec_lo, s1
	ds_swizzle_b32 v4, v3 offset:swizzle(BROADCAST,32,15)
	ds_swizzle_b32 v3, v2 offset:swizzle(BROADCAST,32,15)
	v_and_b32_e32 v7, 16, v6
	s_mov_b32 s1, exec_lo
	s_delay_alu instid0(VALU_DEP_1)
	v_cmpx_ne_u32_e32 0, v7
	s_cbranch_execz .LBB11_12
; %bb.11:
	s_waitcnt lgkmcnt(1)
	v_add_co_u32 v1, s0, v1, v4
	s_delay_alu instid0(VALU_DEP_1) | instskip(NEXT) | instid1(VALU_DEP_2)
	v_add_co_ci_u32_e64 v2, s0, 0, v2, s0
	v_add_co_u32 v1, s0, v1, 0
	s_waitcnt lgkmcnt(0)
	s_delay_alu instid0(VALU_DEP_2)
	v_add_co_ci_u32_e64 v2, s0, v2, v3, s0
.LBB11_12:
	s_or_b32 exec_lo, exec_lo, s1
	s_waitcnt lgkmcnt(0)
	v_or_b32_e32 v3, 31, v0
	v_lshrrev_b32_e32 v7, 5, v0
	s_mov_b32 s1, exec_lo
	s_delay_alu instid0(VALU_DEP_2)
	v_cmpx_eq_u32_e64 v3, v0
	s_cbranch_execz .LBB11_14
; %bb.13:
	s_delay_alu instid0(VALU_DEP_2)
	v_lshlrev_b32_e32 v3, 3, v7
	ds_store_b64 v3, v[1:2]
.LBB11_14:
	s_or_b32 exec_lo, exec_lo, s1
	s_delay_alu instid0(SALU_CYCLE_1)
	s_mov_b32 s1, exec_lo
	s_waitcnt lgkmcnt(0)
	s_barrier
	buffer_gl0_inv
	v_cmpx_gt_u32_e32 8, v0
	s_cbranch_execz .LBB11_22
; %bb.15:
	ds_load_b64 v[3:4], v5
	v_and_b32_e32 v8, 7, v6
	s_mov_b32 s4, exec_lo
	s_waitcnt lgkmcnt(0)
	v_mov_b32_e32 v9, v3
	v_mov_b32_dpp v11, v3 row_shr:1 row_mask:0xf bank_mask:0xf
	v_mov_b32_dpp v10, v4 row_shr:1 row_mask:0xf bank_mask:0xf
	v_cmpx_ne_u32_e32 0, v8
; %bb.16:
	s_delay_alu instid0(VALU_DEP_3) | instskip(NEXT) | instid1(VALU_DEP_1)
	v_add_co_u32 v9, s0, v3, v11
	v_add_co_ci_u32_e64 v4, s0, 0, v4, s0
	s_delay_alu instid0(VALU_DEP_2) | instskip(NEXT) | instid1(VALU_DEP_1)
	v_add_co_u32 v3, s0, 0, v9
	v_add_co_ci_u32_e64 v4, s0, v10, v4, s0
; %bb.17:
	s_or_b32 exec_lo, exec_lo, s4
	v_mov_b32_dpp v11, v9 row_shr:2 row_mask:0xf bank_mask:0xf
	s_delay_alu instid0(VALU_DEP_2)
	v_mov_b32_dpp v10, v4 row_shr:2 row_mask:0xf bank_mask:0xf
	s_mov_b32 s4, exec_lo
	v_cmpx_lt_u32_e32 1, v8
; %bb.18:
	s_delay_alu instid0(VALU_DEP_3) | instskip(NEXT) | instid1(VALU_DEP_1)
	v_add_co_u32 v9, s0, v3, v11
	v_add_co_ci_u32_e64 v4, s0, 0, v4, s0
	s_delay_alu instid0(VALU_DEP_2) | instskip(NEXT) | instid1(VALU_DEP_1)
	v_add_co_u32 v3, s0, 0, v9
	v_add_co_ci_u32_e64 v4, s0, v10, v4, s0
; %bb.19:
	s_or_b32 exec_lo, exec_lo, s4
	v_mov_b32_dpp v10, v9 row_shr:4 row_mask:0xf bank_mask:0xf
	s_delay_alu instid0(VALU_DEP_2)
	v_mov_b32_dpp v9, v4 row_shr:4 row_mask:0xf bank_mask:0xf
	s_mov_b32 s4, exec_lo
	v_cmpx_lt_u32_e32 3, v8
; %bb.20:
	s_delay_alu instid0(VALU_DEP_3) | instskip(NEXT) | instid1(VALU_DEP_1)
	v_add_co_u32 v3, s0, v3, v10
	v_add_co_ci_u32_e64 v4, s0, 0, v4, s0
	s_delay_alu instid0(VALU_DEP_2) | instskip(NEXT) | instid1(VALU_DEP_1)
	v_add_co_u32 v3, s0, v3, 0
	v_add_co_ci_u32_e64 v4, s0, v4, v9, s0
; %bb.21:
	s_or_b32 exec_lo, exec_lo, s4
	ds_store_b64 v5, v[3:4]
.LBB11_22:
	s_or_b32 exec_lo, exec_lo, s1
	v_mov_b32_e32 v3, 0
	v_mov_b32_e32 v4, 0
	s_mov_b32 s1, exec_lo
	s_waitcnt lgkmcnt(0)
	s_barrier
	buffer_gl0_inv
	v_cmpx_lt_u32_e32 31, v0
	s_cbranch_execz .LBB11_24
; %bb.23:
	v_lshl_add_u32 v0, v7, 3, -8
	ds_load_b64 v[3:4], v0
.LBB11_24:
	s_or_b32 exec_lo, exec_lo, s1
	v_add_nc_u32_e32 v0, -1, v6
	s_delay_alu instid0(VALU_DEP_1) | instskip(NEXT) | instid1(VALU_DEP_1)
	v_cmp_gt_i32_e64 s0, 0, v0
	v_cndmask_b32_e64 v0, v0, v6, s0
	s_delay_alu instid0(VALU_DEP_1) | instskip(SKIP_2) | instid1(VALU_DEP_1)
	v_lshlrev_b32_e32 v7, 2, v0
	s_waitcnt lgkmcnt(0)
	v_add_co_u32 v0, s0, v3, v1
	v_add_co_ci_u32_e64 v1, s0, v4, v2, s0
	ds_bpermute_b32 v0, v7, v0
	ds_bpermute_b32 v1, v7, v1
	s_and_saveexec_b32 s0, vcc_lo
	s_cbranch_execz .LBB11_26
; %bb.25:
	v_cmp_eq_u32_e32 vcc_lo, 0, v6
	s_waitcnt lgkmcnt(0)
	v_dual_cndmask_b32 v1, v1, v4 :: v_dual_cndmask_b32 v0, v0, v3
	global_store_b64 v5, v[0:1], s[2:3]
.LBB11_26:
	s_nop 0
	s_sendmsg sendmsg(MSG_DEALLOC_VGPRS)
	s_endpgm
	.section	.rodata,"a",@progbits
	.p2align	6, 0x0
	.amdhsa_kernel _ZN7rocprim17ROCPRIM_304000_NS6detail31onesweep_scan_histograms_kernelINS1_34wrapped_radix_sort_onesweep_configINS0_14default_configElN2at4cuda3cub6detail10OpaqueTypeILi1EEEEEmEEvPT0_
		.amdhsa_group_segment_fixed_size 64
		.amdhsa_private_segment_fixed_size 0
		.amdhsa_kernarg_size 8
		.amdhsa_user_sgpr_count 15
		.amdhsa_user_sgpr_dispatch_ptr 0
		.amdhsa_user_sgpr_queue_ptr 0
		.amdhsa_user_sgpr_kernarg_segment_ptr 1
		.amdhsa_user_sgpr_dispatch_id 0
		.amdhsa_user_sgpr_private_segment_size 0
		.amdhsa_wavefront_size32 1
		.amdhsa_uses_dynamic_stack 0
		.amdhsa_enable_private_segment 0
		.amdhsa_system_sgpr_workgroup_id_x 1
		.amdhsa_system_sgpr_workgroup_id_y 0
		.amdhsa_system_sgpr_workgroup_id_z 0
		.amdhsa_system_sgpr_workgroup_info 0
		.amdhsa_system_vgpr_workitem_id 0
		.amdhsa_next_free_vgpr 12
		.amdhsa_next_free_sgpr 16
		.amdhsa_reserve_vcc 1
		.amdhsa_float_round_mode_32 0
		.amdhsa_float_round_mode_16_64 0
		.amdhsa_float_denorm_mode_32 3
		.amdhsa_float_denorm_mode_16_64 3
		.amdhsa_dx10_clamp 1
		.amdhsa_ieee_mode 1
		.amdhsa_fp16_overflow 0
		.amdhsa_workgroup_processor_mode 1
		.amdhsa_memory_ordered 1
		.amdhsa_forward_progress 0
		.amdhsa_shared_vgpr_count 0
		.amdhsa_exception_fp_ieee_invalid_op 0
		.amdhsa_exception_fp_denorm_src 0
		.amdhsa_exception_fp_ieee_div_zero 0
		.amdhsa_exception_fp_ieee_overflow 0
		.amdhsa_exception_fp_ieee_underflow 0
		.amdhsa_exception_fp_ieee_inexact 0
		.amdhsa_exception_int_div_zero 0
	.end_amdhsa_kernel
	.section	.text._ZN7rocprim17ROCPRIM_304000_NS6detail31onesweep_scan_histograms_kernelINS1_34wrapped_radix_sort_onesweep_configINS0_14default_configElN2at4cuda3cub6detail10OpaqueTypeILi1EEEEEmEEvPT0_,"axG",@progbits,_ZN7rocprim17ROCPRIM_304000_NS6detail31onesweep_scan_histograms_kernelINS1_34wrapped_radix_sort_onesweep_configINS0_14default_configElN2at4cuda3cub6detail10OpaqueTypeILi1EEEEEmEEvPT0_,comdat
.Lfunc_end11:
	.size	_ZN7rocprim17ROCPRIM_304000_NS6detail31onesweep_scan_histograms_kernelINS1_34wrapped_radix_sort_onesweep_configINS0_14default_configElN2at4cuda3cub6detail10OpaqueTypeILi1EEEEEmEEvPT0_, .Lfunc_end11-_ZN7rocprim17ROCPRIM_304000_NS6detail31onesweep_scan_histograms_kernelINS1_34wrapped_radix_sort_onesweep_configINS0_14default_configElN2at4cuda3cub6detail10OpaqueTypeILi1EEEEEmEEvPT0_
                                        ; -- End function
	.section	.AMDGPU.csdata,"",@progbits
; Kernel info:
; codeLenInByte = 956
; NumSgprs: 18
; NumVgprs: 12
; ScratchSize: 0
; MemoryBound: 0
; FloatMode: 240
; IeeeMode: 1
; LDSByteSize: 64 bytes/workgroup (compile time only)
; SGPRBlocks: 2
; VGPRBlocks: 1
; NumSGPRsForWavesPerEU: 18
; NumVGPRsForWavesPerEU: 12
; Occupancy: 16
; WaveLimiterHint : 0
; COMPUTE_PGM_RSRC2:SCRATCH_EN: 0
; COMPUTE_PGM_RSRC2:USER_SGPR: 15
; COMPUTE_PGM_RSRC2:TRAP_HANDLER: 0
; COMPUTE_PGM_RSRC2:TGID_X_EN: 1
; COMPUTE_PGM_RSRC2:TGID_Y_EN: 0
; COMPUTE_PGM_RSRC2:TGID_Z_EN: 0
; COMPUTE_PGM_RSRC2:TIDIG_COMP_CNT: 0
	.section	.text._ZN7rocprim17ROCPRIM_304000_NS6detail16transform_kernelINS1_24wrapped_transform_configINS0_14default_configElEElPKlPlNS0_8identityIlEEEEvT1_mT2_T3_,"axG",@progbits,_ZN7rocprim17ROCPRIM_304000_NS6detail16transform_kernelINS1_24wrapped_transform_configINS0_14default_configElEElPKlPlNS0_8identityIlEEEEvT1_mT2_T3_,comdat
	.protected	_ZN7rocprim17ROCPRIM_304000_NS6detail16transform_kernelINS1_24wrapped_transform_configINS0_14default_configElEElPKlPlNS0_8identityIlEEEEvT1_mT2_T3_ ; -- Begin function _ZN7rocprim17ROCPRIM_304000_NS6detail16transform_kernelINS1_24wrapped_transform_configINS0_14default_configElEElPKlPlNS0_8identityIlEEEEvT1_mT2_T3_
	.globl	_ZN7rocprim17ROCPRIM_304000_NS6detail16transform_kernelINS1_24wrapped_transform_configINS0_14default_configElEElPKlPlNS0_8identityIlEEEEvT1_mT2_T3_
	.p2align	8
	.type	_ZN7rocprim17ROCPRIM_304000_NS6detail16transform_kernelINS1_24wrapped_transform_configINS0_14default_configElEElPKlPlNS0_8identityIlEEEEvT1_mT2_T3_,@function
_ZN7rocprim17ROCPRIM_304000_NS6detail16transform_kernelINS1_24wrapped_transform_configINS0_14default_configElEElPKlPlNS0_8identityIlEEEEvT1_mT2_T3_: ; @_ZN7rocprim17ROCPRIM_304000_NS6detail16transform_kernelINS1_24wrapped_transform_configINS0_14default_configElEElPKlPlNS0_8identityIlEEEEvT1_mT2_T3_
; %bb.0:
	s_clause 0x2
	s_load_b32 s3, s[0:1], 0x20
	s_load_b128 s[4:7], s[0:1], 0x0
	s_load_b64 s[0:1], s[0:1], 0x10
	v_lshlrev_b32_e32 v2, 3, v0
	s_lshl_b32 s2, s15, 9
	s_waitcnt lgkmcnt(0)
	s_add_i32 s7, s3, -1
	s_mov_b32 s3, 0
	s_cmp_lg_u32 s15, s7
	s_mov_b32 s7, -1
	s_cbranch_scc0 .LBB12_2
; %bb.1:
	s_lshl_b64 s[8:9], s[2:3], 3
	s_mov_b32 s7, s3
	s_add_u32 s10, s4, s8
	s_addc_u32 s11, s5, s9
	s_add_u32 s8, s0, s8
	global_load_b64 v[3:4], v2, s[10:11]
	s_addc_u32 s9, s1, s9
	s_waitcnt vmcnt(0)
	global_store_b64 v2, v[3:4], s[8:9]
.LBB12_2:
	s_and_not1_b32 vcc_lo, exec_lo, s7
	s_cbranch_vccnz .LBB12_7
; %bb.3:
	s_sub_i32 s6, s6, s2
	s_delay_alu instid0(SALU_CYCLE_1)
	v_cmp_gt_u32_e32 vcc_lo, s6, v0
                                        ; implicit-def: $vgpr0_vgpr1
	s_and_saveexec_b32 s6, vcc_lo
	s_cbranch_execz .LBB12_5
; %bb.4:
	s_lshl_b64 s[8:9], s[2:3], 3
	s_delay_alu instid0(SALU_CYCLE_1)
	s_add_u32 s4, s4, s8
	s_addc_u32 s5, s5, s9
	global_load_b64 v[0:1], v2, s[4:5]
.LBB12_5:
	s_or_b32 exec_lo, exec_lo, s6
	s_and_saveexec_b32 s4, vcc_lo
	s_cbranch_execz .LBB12_7
; %bb.6:
	s_lshl_b64 s[2:3], s[2:3], 3
	s_delay_alu instid0(SALU_CYCLE_1)
	s_add_u32 s0, s0, s2
	s_addc_u32 s1, s1, s3
	s_waitcnt vmcnt(0)
	global_store_b64 v2, v[0:1], s[0:1]
.LBB12_7:
	s_nop 0
	s_sendmsg sendmsg(MSG_DEALLOC_VGPRS)
	s_endpgm
	.section	.rodata,"a",@progbits
	.p2align	6, 0x0
	.amdhsa_kernel _ZN7rocprim17ROCPRIM_304000_NS6detail16transform_kernelINS1_24wrapped_transform_configINS0_14default_configElEElPKlPlNS0_8identityIlEEEEvT1_mT2_T3_
		.amdhsa_group_segment_fixed_size 0
		.amdhsa_private_segment_fixed_size 0
		.amdhsa_kernarg_size 288
		.amdhsa_user_sgpr_count 15
		.amdhsa_user_sgpr_dispatch_ptr 0
		.amdhsa_user_sgpr_queue_ptr 0
		.amdhsa_user_sgpr_kernarg_segment_ptr 1
		.amdhsa_user_sgpr_dispatch_id 0
		.amdhsa_user_sgpr_private_segment_size 0
		.amdhsa_wavefront_size32 1
		.amdhsa_uses_dynamic_stack 0
		.amdhsa_enable_private_segment 0
		.amdhsa_system_sgpr_workgroup_id_x 1
		.amdhsa_system_sgpr_workgroup_id_y 0
		.amdhsa_system_sgpr_workgroup_id_z 0
		.amdhsa_system_sgpr_workgroup_info 0
		.amdhsa_system_vgpr_workitem_id 0
		.amdhsa_next_free_vgpr 5
		.amdhsa_next_free_sgpr 16
		.amdhsa_reserve_vcc 1
		.amdhsa_float_round_mode_32 0
		.amdhsa_float_round_mode_16_64 0
		.amdhsa_float_denorm_mode_32 3
		.amdhsa_float_denorm_mode_16_64 3
		.amdhsa_dx10_clamp 1
		.amdhsa_ieee_mode 1
		.amdhsa_fp16_overflow 0
		.amdhsa_workgroup_processor_mode 1
		.amdhsa_memory_ordered 1
		.amdhsa_forward_progress 0
		.amdhsa_shared_vgpr_count 0
		.amdhsa_exception_fp_ieee_invalid_op 0
		.amdhsa_exception_fp_denorm_src 0
		.amdhsa_exception_fp_ieee_div_zero 0
		.amdhsa_exception_fp_ieee_overflow 0
		.amdhsa_exception_fp_ieee_underflow 0
		.amdhsa_exception_fp_ieee_inexact 0
		.amdhsa_exception_int_div_zero 0
	.end_amdhsa_kernel
	.section	.text._ZN7rocprim17ROCPRIM_304000_NS6detail16transform_kernelINS1_24wrapped_transform_configINS0_14default_configElEElPKlPlNS0_8identityIlEEEEvT1_mT2_T3_,"axG",@progbits,_ZN7rocprim17ROCPRIM_304000_NS6detail16transform_kernelINS1_24wrapped_transform_configINS0_14default_configElEElPKlPlNS0_8identityIlEEEEvT1_mT2_T3_,comdat
.Lfunc_end12:
	.size	_ZN7rocprim17ROCPRIM_304000_NS6detail16transform_kernelINS1_24wrapped_transform_configINS0_14default_configElEElPKlPlNS0_8identityIlEEEEvT1_mT2_T3_, .Lfunc_end12-_ZN7rocprim17ROCPRIM_304000_NS6detail16transform_kernelINS1_24wrapped_transform_configINS0_14default_configElEElPKlPlNS0_8identityIlEEEEvT1_mT2_T3_
                                        ; -- End function
	.section	.AMDGPU.csdata,"",@progbits
; Kernel info:
; codeLenInByte = 208
; NumSgprs: 18
; NumVgprs: 5
; ScratchSize: 0
; MemoryBound: 0
; FloatMode: 240
; IeeeMode: 1
; LDSByteSize: 0 bytes/workgroup (compile time only)
; SGPRBlocks: 2
; VGPRBlocks: 0
; NumSGPRsForWavesPerEU: 18
; NumVGPRsForWavesPerEU: 5
; Occupancy: 16
; WaveLimiterHint : 0
; COMPUTE_PGM_RSRC2:SCRATCH_EN: 0
; COMPUTE_PGM_RSRC2:USER_SGPR: 15
; COMPUTE_PGM_RSRC2:TRAP_HANDLER: 0
; COMPUTE_PGM_RSRC2:TGID_X_EN: 1
; COMPUTE_PGM_RSRC2:TGID_Y_EN: 0
; COMPUTE_PGM_RSRC2:TGID_Z_EN: 0
; COMPUTE_PGM_RSRC2:TIDIG_COMP_CNT: 0
	.section	.text._ZN7rocprim17ROCPRIM_304000_NS6detail16transform_kernelINS1_24wrapped_transform_configINS0_14default_configEN2at4cuda3cub6detail10OpaqueTypeILi1EEEEESA_PKSA_PSA_NS0_8identityISA_EEEEvT1_mT2_T3_,"axG",@progbits,_ZN7rocprim17ROCPRIM_304000_NS6detail16transform_kernelINS1_24wrapped_transform_configINS0_14default_configEN2at4cuda3cub6detail10OpaqueTypeILi1EEEEESA_PKSA_PSA_NS0_8identityISA_EEEEvT1_mT2_T3_,comdat
	.protected	_ZN7rocprim17ROCPRIM_304000_NS6detail16transform_kernelINS1_24wrapped_transform_configINS0_14default_configEN2at4cuda3cub6detail10OpaqueTypeILi1EEEEESA_PKSA_PSA_NS0_8identityISA_EEEEvT1_mT2_T3_ ; -- Begin function _ZN7rocprim17ROCPRIM_304000_NS6detail16transform_kernelINS1_24wrapped_transform_configINS0_14default_configEN2at4cuda3cub6detail10OpaqueTypeILi1EEEEESA_PKSA_PSA_NS0_8identityISA_EEEEvT1_mT2_T3_
	.globl	_ZN7rocprim17ROCPRIM_304000_NS6detail16transform_kernelINS1_24wrapped_transform_configINS0_14default_configEN2at4cuda3cub6detail10OpaqueTypeILi1EEEEESA_PKSA_PSA_NS0_8identityISA_EEEEvT1_mT2_T3_
	.p2align	8
	.type	_ZN7rocprim17ROCPRIM_304000_NS6detail16transform_kernelINS1_24wrapped_transform_configINS0_14default_configEN2at4cuda3cub6detail10OpaqueTypeILi1EEEEESA_PKSA_PSA_NS0_8identityISA_EEEEvT1_mT2_T3_,@function
_ZN7rocprim17ROCPRIM_304000_NS6detail16transform_kernelINS1_24wrapped_transform_configINS0_14default_configEN2at4cuda3cub6detail10OpaqueTypeILi1EEEEESA_PKSA_PSA_NS0_8identityISA_EEEEvT1_mT2_T3_: ; @_ZN7rocprim17ROCPRIM_304000_NS6detail16transform_kernelINS1_24wrapped_transform_configINS0_14default_configEN2at4cuda3cub6detail10OpaqueTypeILi1EEEEESA_PKSA_PSA_NS0_8identityISA_EEEEvT1_mT2_T3_
; %bb.0:
	s_clause 0x2
	s_load_b32 s8, s[0:1], 0x20
	s_load_b128 s[4:7], s[0:1], 0x0
	s_load_b64 s[2:3], s[0:1], 0x10
	s_waitcnt lgkmcnt(0)
	s_lshl_b32 s7, s15, 12
	s_add_i32 s8, s8, -1
	s_add_u32 s0, s4, s7
	s_addc_u32 s1, s5, 0
	v_add_co_u32 v1, s0, s0, v0
	s_delay_alu instid0(VALU_DEP_1)
	v_add_co_ci_u32_e64 v2, null, s1, 0, s0
	s_mov_b32 s4, 0
	s_cmp_lg_u32 s15, s8
	s_mov_b32 s0, -1
	s_cbranch_scc0 .LBB13_2
; %bb.1:
	s_clause 0x3
	global_load_u8 v6, v[1:2], off
	global_load_u8 v7, v[1:2], off offset:1024
	global_load_u8 v8, v[1:2], off offset:2048
	;; [unrolled: 1-line block ×3, first 2 shown]
	s_add_u32 s0, s2, s7
	s_addc_u32 s1, s3, 0
	v_add_co_u32 v4, s0, s0, v0
	s_delay_alu instid0(VALU_DEP_1)
	v_add_co_ci_u32_e64 v5, null, s1, 0, s0
	s_mov_b32 s4, -1
	s_waitcnt vmcnt(3)
	global_store_b8 v[4:5], v6, off
	s_waitcnt vmcnt(2)
	global_store_b8 v[4:5], v7, off offset:1024
	s_waitcnt vmcnt(1)
	global_store_b8 v[4:5], v8, off offset:2048
	s_cbranch_execz .LBB13_3
	s_branch .LBB13_16
.LBB13_2:
                                        ; implicit-def: $vgpr3
	s_and_not1_b32 vcc_lo, exec_lo, s0
	s_cbranch_vccnz .LBB13_16
.LBB13_3:
	s_sub_i32 s4, s6, s7
                                        ; implicit-def: $vgpr4
	s_delay_alu instid0(SALU_CYCLE_1)
	v_cmp_gt_u32_e32 vcc_lo, s4, v0
	s_and_saveexec_b32 s0, vcc_lo
	s_cbranch_execz .LBB13_5
; %bb.4:
	global_load_u8 v4, v[1:2], off
.LBB13_5:
	s_or_b32 exec_lo, exec_lo, s0
	s_waitcnt vmcnt(0)
	v_or_b32_e32 v3, 0x400, v0
                                        ; implicit-def: $vgpr5
	s_delay_alu instid0(VALU_DEP_1) | instskip(NEXT) | instid1(VALU_DEP_1)
	v_cmp_gt_u32_e64 s0, s4, v3
	s_and_saveexec_b32 s1, s0
	s_cbranch_execz .LBB13_7
; %bb.6:
	global_load_u8 v5, v[1:2], off offset:1024
.LBB13_7:
	s_or_b32 exec_lo, exec_lo, s1
	v_or_b32_e32 v3, 0x800, v0
                                        ; implicit-def: $vgpr6
	s_delay_alu instid0(VALU_DEP_1) | instskip(NEXT) | instid1(VALU_DEP_1)
	v_cmp_gt_u32_e64 s1, s4, v3
	s_and_saveexec_b32 s5, s1
	s_cbranch_execz .LBB13_9
; %bb.8:
	global_load_u8 v6, v[1:2], off offset:2048
.LBB13_9:
	s_or_b32 exec_lo, exec_lo, s5
	v_or_b32_e32 v3, 0xc00, v0
	s_delay_alu instid0(VALU_DEP_1) | instskip(NEXT) | instid1(VALU_DEP_1)
	v_cmp_gt_u32_e64 s4, s4, v3
                                        ; implicit-def: $vgpr3
	s_and_saveexec_b32 s5, s4
	s_cbranch_execz .LBB13_11
; %bb.10:
	global_load_u8 v3, v[1:2], off offset:3072
.LBB13_11:
	s_or_b32 exec_lo, exec_lo, s5
	s_add_u32 s5, s2, s7
	s_addc_u32 s6, s3, 0
	v_add_co_u32 v1, s5, s5, v0
	s_delay_alu instid0(VALU_DEP_1) | instskip(SKIP_1) | instid1(SALU_CYCLE_1)
	v_add_co_ci_u32_e64 v2, null, s6, 0, s5
	s_and_saveexec_b32 s5, vcc_lo
	s_xor_b32 s5, exec_lo, s5
	s_cbranch_execnz .LBB13_19
; %bb.12:
	s_or_b32 exec_lo, exec_lo, s5
	s_and_saveexec_b32 s5, s0
	s_cbranch_execnz .LBB13_20
.LBB13_13:
	s_or_b32 exec_lo, exec_lo, s5
	s_and_saveexec_b32 s0, s1
	s_cbranch_execz .LBB13_15
.LBB13_14:
	s_waitcnt vmcnt(0)
	global_store_b8 v[1:2], v6, off offset:2048
.LBB13_15:
	s_or_b32 exec_lo, exec_lo, s0
.LBB13_16:
	s_and_saveexec_b32 s0, s4
	s_cbranch_execnz .LBB13_18
; %bb.17:
	s_nop 0
	s_sendmsg sendmsg(MSG_DEALLOC_VGPRS)
	s_endpgm
.LBB13_18:
	s_add_u32 s0, s2, s7
	s_addc_u32 s1, s3, 0
	v_add_co_u32 v0, s0, s0, v0
	s_delay_alu instid0(VALU_DEP_1)
	v_add_co_ci_u32_e64 v1, null, s1, 0, s0
	s_waitcnt vmcnt(0)
	global_store_b8 v[0:1], v3, off offset:3072
	s_nop 0
	s_sendmsg sendmsg(MSG_DEALLOC_VGPRS)
	s_endpgm
.LBB13_19:
	global_store_b8 v[1:2], v4, off
	s_or_b32 exec_lo, exec_lo, s5
	s_and_saveexec_b32 s5, s0
	s_cbranch_execz .LBB13_13
.LBB13_20:
	s_waitcnt vmcnt(0)
	global_store_b8 v[1:2], v5, off offset:1024
	s_or_b32 exec_lo, exec_lo, s5
	s_and_saveexec_b32 s0, s1
	s_cbranch_execnz .LBB13_14
	s_branch .LBB13_15
	.section	.rodata,"a",@progbits
	.p2align	6, 0x0
	.amdhsa_kernel _ZN7rocprim17ROCPRIM_304000_NS6detail16transform_kernelINS1_24wrapped_transform_configINS0_14default_configEN2at4cuda3cub6detail10OpaqueTypeILi1EEEEESA_PKSA_PSA_NS0_8identityISA_EEEEvT1_mT2_T3_
		.amdhsa_group_segment_fixed_size 0
		.amdhsa_private_segment_fixed_size 0
		.amdhsa_kernarg_size 288
		.amdhsa_user_sgpr_count 15
		.amdhsa_user_sgpr_dispatch_ptr 0
		.amdhsa_user_sgpr_queue_ptr 0
		.amdhsa_user_sgpr_kernarg_segment_ptr 1
		.amdhsa_user_sgpr_dispatch_id 0
		.amdhsa_user_sgpr_private_segment_size 0
		.amdhsa_wavefront_size32 1
		.amdhsa_uses_dynamic_stack 0
		.amdhsa_enable_private_segment 0
		.amdhsa_system_sgpr_workgroup_id_x 1
		.amdhsa_system_sgpr_workgroup_id_y 0
		.amdhsa_system_sgpr_workgroup_id_z 0
		.amdhsa_system_sgpr_workgroup_info 0
		.amdhsa_system_vgpr_workitem_id 0
		.amdhsa_next_free_vgpr 9
		.amdhsa_next_free_sgpr 16
		.amdhsa_reserve_vcc 1
		.amdhsa_float_round_mode_32 0
		.amdhsa_float_round_mode_16_64 0
		.amdhsa_float_denorm_mode_32 3
		.amdhsa_float_denorm_mode_16_64 3
		.amdhsa_dx10_clamp 1
		.amdhsa_ieee_mode 1
		.amdhsa_fp16_overflow 0
		.amdhsa_workgroup_processor_mode 1
		.amdhsa_memory_ordered 1
		.amdhsa_forward_progress 0
		.amdhsa_shared_vgpr_count 0
		.amdhsa_exception_fp_ieee_invalid_op 0
		.amdhsa_exception_fp_denorm_src 0
		.amdhsa_exception_fp_ieee_div_zero 0
		.amdhsa_exception_fp_ieee_overflow 0
		.amdhsa_exception_fp_ieee_underflow 0
		.amdhsa_exception_fp_ieee_inexact 0
		.amdhsa_exception_int_div_zero 0
	.end_amdhsa_kernel
	.section	.text._ZN7rocprim17ROCPRIM_304000_NS6detail16transform_kernelINS1_24wrapped_transform_configINS0_14default_configEN2at4cuda3cub6detail10OpaqueTypeILi1EEEEESA_PKSA_PSA_NS0_8identityISA_EEEEvT1_mT2_T3_,"axG",@progbits,_ZN7rocprim17ROCPRIM_304000_NS6detail16transform_kernelINS1_24wrapped_transform_configINS0_14default_configEN2at4cuda3cub6detail10OpaqueTypeILi1EEEEESA_PKSA_PSA_NS0_8identityISA_EEEEvT1_mT2_T3_,comdat
.Lfunc_end13:
	.size	_ZN7rocprim17ROCPRIM_304000_NS6detail16transform_kernelINS1_24wrapped_transform_configINS0_14default_configEN2at4cuda3cub6detail10OpaqueTypeILi1EEEEESA_PKSA_PSA_NS0_8identityISA_EEEEvT1_mT2_T3_, .Lfunc_end13-_ZN7rocprim17ROCPRIM_304000_NS6detail16transform_kernelINS1_24wrapped_transform_configINS0_14default_configEN2at4cuda3cub6detail10OpaqueTypeILi1EEEEESA_PKSA_PSA_NS0_8identityISA_EEEEvT1_mT2_T3_
                                        ; -- End function
	.section	.AMDGPU.csdata,"",@progbits
; Kernel info:
; codeLenInByte = 560
; NumSgprs: 18
; NumVgprs: 9
; ScratchSize: 0
; MemoryBound: 0
; FloatMode: 240
; IeeeMode: 1
; LDSByteSize: 0 bytes/workgroup (compile time only)
; SGPRBlocks: 2
; VGPRBlocks: 1
; NumSGPRsForWavesPerEU: 18
; NumVGPRsForWavesPerEU: 9
; Occupancy: 16
; WaveLimiterHint : 1
; COMPUTE_PGM_RSRC2:SCRATCH_EN: 0
; COMPUTE_PGM_RSRC2:USER_SGPR: 15
; COMPUTE_PGM_RSRC2:TRAP_HANDLER: 0
; COMPUTE_PGM_RSRC2:TGID_X_EN: 1
; COMPUTE_PGM_RSRC2:TGID_Y_EN: 0
; COMPUTE_PGM_RSRC2:TGID_Z_EN: 0
; COMPUTE_PGM_RSRC2:TIDIG_COMP_CNT: 0
	.section	.text._ZN7rocprim17ROCPRIM_304000_NS6detail25onesweep_iteration_kernelINS1_34wrapped_radix_sort_onesweep_configINS0_14default_configElN2at4cuda3cub6detail10OpaqueTypeILi1EEEEELb1EPKlPlPKSA_PSA_mNS0_19identity_decomposerEEEvT1_T2_T3_T4_jPT5_SO_PNS1_23onesweep_lookback_stateET6_jjj,"axG",@progbits,_ZN7rocprim17ROCPRIM_304000_NS6detail25onesweep_iteration_kernelINS1_34wrapped_radix_sort_onesweep_configINS0_14default_configElN2at4cuda3cub6detail10OpaqueTypeILi1EEEEELb1EPKlPlPKSA_PSA_mNS0_19identity_decomposerEEEvT1_T2_T3_T4_jPT5_SO_PNS1_23onesweep_lookback_stateET6_jjj,comdat
	.protected	_ZN7rocprim17ROCPRIM_304000_NS6detail25onesweep_iteration_kernelINS1_34wrapped_radix_sort_onesweep_configINS0_14default_configElN2at4cuda3cub6detail10OpaqueTypeILi1EEEEELb1EPKlPlPKSA_PSA_mNS0_19identity_decomposerEEEvT1_T2_T3_T4_jPT5_SO_PNS1_23onesweep_lookback_stateET6_jjj ; -- Begin function _ZN7rocprim17ROCPRIM_304000_NS6detail25onesweep_iteration_kernelINS1_34wrapped_radix_sort_onesweep_configINS0_14default_configElN2at4cuda3cub6detail10OpaqueTypeILi1EEEEELb1EPKlPlPKSA_PSA_mNS0_19identity_decomposerEEEvT1_T2_T3_T4_jPT5_SO_PNS1_23onesweep_lookback_stateET6_jjj
	.globl	_ZN7rocprim17ROCPRIM_304000_NS6detail25onesweep_iteration_kernelINS1_34wrapped_radix_sort_onesweep_configINS0_14default_configElN2at4cuda3cub6detail10OpaqueTypeILi1EEEEELb1EPKlPlPKSA_PSA_mNS0_19identity_decomposerEEEvT1_T2_T3_T4_jPT5_SO_PNS1_23onesweep_lookback_stateET6_jjj
	.p2align	8
	.type	_ZN7rocprim17ROCPRIM_304000_NS6detail25onesweep_iteration_kernelINS1_34wrapped_radix_sort_onesweep_configINS0_14default_configElN2at4cuda3cub6detail10OpaqueTypeILi1EEEEELb1EPKlPlPKSA_PSA_mNS0_19identity_decomposerEEEvT1_T2_T3_T4_jPT5_SO_PNS1_23onesweep_lookback_stateET6_jjj,@function
_ZN7rocprim17ROCPRIM_304000_NS6detail25onesweep_iteration_kernelINS1_34wrapped_radix_sort_onesweep_configINS0_14default_configElN2at4cuda3cub6detail10OpaqueTypeILi1EEEEELb1EPKlPlPKSA_PSA_mNS0_19identity_decomposerEEEvT1_T2_T3_T4_jPT5_SO_PNS1_23onesweep_lookback_stateET6_jjj: ; @_ZN7rocprim17ROCPRIM_304000_NS6detail25onesweep_iteration_kernelINS1_34wrapped_radix_sort_onesweep_configINS0_14default_configElN2at4cuda3cub6detail10OpaqueTypeILi1EEEEELb1EPKlPlPKSA_PSA_mNS0_19identity_decomposerEEEvT1_T2_T3_T4_jPT5_SO_PNS1_23onesweep_lookback_stateET6_jjj
; %bb.0:
	s_clause 0x3
	s_load_b128 s[48:51], s[0:1], 0x44
	s_load_b256 s[36:43], s[0:1], 0x0
	s_load_b128 s[44:47], s[0:1], 0x28
	s_load_b64 s[52:53], s[0:1], 0x38
	v_and_b32_e32 v1, 0x3ff, v0
	v_mbcnt_lo_u32_b32 v42, -1, 0
	s_mov_b32 s54, s15
	s_waitcnt lgkmcnt(0)
	s_cmp_ge_u32 s15, s50
	s_cbranch_scc0 .LBB14_164
; %bb.1:
	s_load_b32 s6, s[0:1], 0x20
	s_mov_b32 s51, 0
	s_brev_b32 s5, 1
	s_mov_b32 s4, s51
	v_lshlrev_b32_e32 v2, 4, v1
	s_lshl_b32 s7, s50, 12
	s_lshl_b32 s50, s15, 12
	v_lshlrev_b32_e32 v3, 3, v42
	s_lshl_b64 s[2:3], s[50:51], 3
	v_and_b32_e32 v43, 0xe00, v2
	s_delay_alu instid0(VALU_DEP_1)
	v_lshlrev_b32_e32 v4, 3, v43
	s_waitcnt lgkmcnt(0)
	s_sub_i32 s35, s6, s7
	s_add_u32 s2, s36, s2
	s_addc_u32 s3, s37, s3
	v_add_co_u32 v3, s2, s2, v3
	s_delay_alu instid0(VALU_DEP_1) | instskip(NEXT) | instid1(VALU_DEP_2)
	v_add_co_ci_u32_e64 v5, null, s3, 0, s2
	v_add_co_u32 v34, s2, v3, v4
	s_delay_alu instid0(VALU_DEP_1) | instskip(SKIP_3) | instid1(VALU_DEP_2)
	v_add_co_ci_u32_e64 v35, s2, 0, v5, s2
	v_mov_b32_e32 v4, s4
	v_or_b32_e32 v2, v42, v43
	v_mov_b32_e32 v5, s5
	v_cmp_gt_u32_e32 vcc_lo, s35, v2
	s_and_saveexec_b32 s2, vcc_lo
	s_cbranch_execz .LBB14_3
; %bb.2:
	global_load_b64 v[4:5], v[34:35], off
.LBB14_3:
	s_or_b32 exec_lo, exec_lo, s2
	v_add_nc_u32_e32 v3, 32, v2
	v_dual_mov_b32 v7, s5 :: v_dual_mov_b32 v6, s4
	s_delay_alu instid0(VALU_DEP_2) | instskip(NEXT) | instid1(VALU_DEP_1)
	v_cmp_gt_u32_e64 s2, s35, v3
	s_and_saveexec_b32 s3, s2
	s_cbranch_execz .LBB14_5
; %bb.4:
	global_load_b64 v[6:7], v[34:35], off offset:256
.LBB14_5:
	s_or_b32 exec_lo, exec_lo, s3
	s_mov_b32 s6, 0
	s_brev_b32 s7, 1
	v_add_nc_u32_e32 v3, 64, v2
	v_dual_mov_b32 v9, s7 :: v_dual_mov_b32 v8, s6
	s_delay_alu instid0(VALU_DEP_2) | instskip(NEXT) | instid1(VALU_DEP_1)
	v_cmp_gt_u32_e64 s3, s35, v3
	s_and_saveexec_b32 s4, s3
	s_cbranch_execz .LBB14_7
; %bb.6:
	global_load_b64 v[8:9], v[34:35], off offset:512
.LBB14_7:
	s_or_b32 exec_lo, exec_lo, s4
	v_add_nc_u32_e32 v3, 0x60, v2
	v_dual_mov_b32 v11, s7 :: v_dual_mov_b32 v10, s6
	s_delay_alu instid0(VALU_DEP_2) | instskip(NEXT) | instid1(VALU_DEP_1)
	v_cmp_gt_u32_e64 s4, s35, v3
	s_and_saveexec_b32 s5, s4
	s_cbranch_execz .LBB14_9
; %bb.8:
	global_load_b64 v[10:11], v[34:35], off offset:768
.LBB14_9:
	s_or_b32 exec_lo, exec_lo, s5
	s_mov_b32 s8, 0
	s_brev_b32 s9, 1
	v_add_nc_u32_e32 v3, 0x80, v2
	v_dual_mov_b32 v17, s9 :: v_dual_mov_b32 v16, s8
	s_delay_alu instid0(VALU_DEP_2) | instskip(NEXT) | instid1(VALU_DEP_1)
	v_cmp_gt_u32_e64 s5, s35, v3
	s_and_saveexec_b32 s6, s5
	s_cbranch_execz .LBB14_11
; %bb.10:
	global_load_b64 v[16:17], v[34:35], off offset:1024
.LBB14_11:
	;; [unrolled: 22-line block ×5, first 2 shown]
	s_or_b32 exec_lo, exec_lo, s12
	v_add_nc_u32_e32 v3, 0x160, v2
	v_dual_mov_b32 v23, s17 :: v_dual_mov_b32 v22, s16
	s_delay_alu instid0(VALU_DEP_2) | instskip(NEXT) | instid1(VALU_DEP_1)
	v_cmp_gt_u32_e64 s12, s35, v3
	s_and_saveexec_b32 s13, s12
	s_cbranch_execz .LBB14_25
; %bb.24:
	global_load_b64 v[22:23], v[34:35], off offset:2816
.LBB14_25:
	s_or_b32 exec_lo, exec_lo, s13
	v_add_nc_u32_e32 v3, 0x180, v2
	v_dual_mov_b32 v19, s17 :: v_dual_mov_b32 v18, s16
	s_delay_alu instid0(VALU_DEP_2) | instskip(NEXT) | instid1(VALU_DEP_1)
	v_cmp_gt_u32_e64 s13, s35, v3
	s_and_saveexec_b32 s14, s13
	s_cbranch_execz .LBB14_27
; %bb.26:
	global_load_b64 v[18:19], v[34:35], off offset:3072
.LBB14_27:
	s_or_b32 exec_lo, exec_lo, s14
	v_dual_mov_b32 v14, s16 :: v_dual_add_nc_u32 v3, 0x1a0, v2
	v_mov_b32_e32 v15, s17
	s_delay_alu instid0(VALU_DEP_2) | instskip(NEXT) | instid1(VALU_DEP_1)
	v_cmp_gt_u32_e64 s14, s35, v3
	s_and_saveexec_b32 s16, s14
	s_cbranch_execz .LBB14_29
; %bb.28:
	global_load_b64 v[14:15], v[34:35], off offset:3328
.LBB14_29:
	s_or_b32 exec_lo, exec_lo, s16
	s_mov_b32 s18, 0
	s_brev_b32 s19, 1
	v_dual_mov_b32 v12, s18 :: v_dual_add_nc_u32 v3, 0x1c0, v2
	v_mov_b32_e32 v13, s19
	s_delay_alu instid0(VALU_DEP_2) | instskip(NEXT) | instid1(VALU_DEP_1)
	v_cmp_gt_u32_e64 s16, s35, v3
	s_and_saveexec_b32 s17, s16
	s_cbranch_execz .LBB14_31
; %bb.30:
	global_load_b64 v[12:13], v[34:35], off offset:3584
.LBB14_31:
	s_or_b32 exec_lo, exec_lo, s17
	v_add_nc_u32_e32 v2, 0x1e0, v2
	s_delay_alu instid0(VALU_DEP_1) | instskip(SKIP_1) | instid1(VALU_DEP_2)
	v_cmp_gt_u32_e64 s17, s35, v2
	v_dual_mov_b32 v2, s18 :: v_dual_mov_b32 v3, s19
	s_and_saveexec_b32 s18, s17
	s_cbranch_execz .LBB14_33
; %bb.32:
	global_load_b64 v[2:3], v[34:35], off offset:3840
.LBB14_33:
	s_or_b32 exec_lo, exec_lo, s18
	s_clause 0x1
	s_load_b32 s18, s[0:1], 0x5c
	s_load_b32 s51, s[0:1], 0x50
	s_add_u32 s19, s0, 0x50
	s_addc_u32 s20, s1, 0
	v_mov_b32_e32 v37, 0
	s_waitcnt vmcnt(0)
	v_xor_b32_e32 v5, 0x7fffffff, v5
	v_not_b32_e32 v4, v4
	s_delay_alu instid0(VALU_DEP_1) | instskip(SKIP_4) | instid1(SALU_CYCLE_1)
	v_lshrrev_b64 v[34:35], s48, v[4:5]
	s_waitcnt lgkmcnt(0)
	s_lshr_b32 s21, s18, 16
	s_cmp_lt_u32 s15, s51
	s_cselect_b32 s18, 12, 18
	s_add_u32 s18, s19, s18
	s_addc_u32 s19, s20, 0
	global_load_u16 v38, v37, s[18:19]
	s_lshl_b32 s18, -1, s49
	s_delay_alu instid0(SALU_CYCLE_1) | instskip(NEXT) | instid1(SALU_CYCLE_1)
	s_not_b32 s55, s18
	v_and_b32_e32 v39, s55, v34
	v_bfe_u32 v34, v0, 10, 10
	s_delay_alu instid0(VALU_DEP_2)
	v_lshlrev_b32_e32 v36, 30, v39
	v_and_b32_e32 v35, 1, v39
	v_lshlrev_b32_e32 v40, 29, v39
	v_lshlrev_b32_e32 v41, 28, v39
	;; [unrolled: 1-line block ×3, first 2 shown]
	v_not_b32_e32 v48, v36
	v_add_co_u32 v35, s18, v35, -1
	s_delay_alu instid0(VALU_DEP_1)
	v_cndmask_b32_e64 v44, 0, 1, s18
	v_cmp_gt_i32_e64 s19, 0, v36
	v_not_b32_e32 v36, v40
	v_ashrrev_i32_e32 v48, 31, v48
	v_lshlrev_b32_e32 v46, 26, v39
	v_cmp_ne_u32_e64 s18, 0, v44
	v_lshlrev_b32_e32 v47, 25, v39
	v_ashrrev_i32_e32 v36, 31, v36
	v_xor_b32_e32 v48, s19, v48
	v_cmp_gt_i32_e64 s19, 0, v41
	v_xor_b32_e32 v35, s18, v35
	v_cmp_gt_i32_e64 s18, 0, v40
	v_not_b32_e32 v40, v41
	v_not_b32_e32 v41, v45
	v_lshlrev_b32_e32 v44, 24, v39
	v_and_b32_e32 v35, exec_lo, v35
	v_xor_b32_e32 v36, s18, v36
	v_ashrrev_i32_e32 v40, 31, v40
	v_cmp_gt_i32_e64 s18, 0, v45
	v_not_b32_e32 v45, v46
	v_and_b32_e32 v35, v35, v48
	v_ashrrev_i32_e32 v41, 31, v41
	v_xor_b32_e32 v40, s19, v40
	v_cmp_gt_i32_e64 s19, 0, v46
	v_ashrrev_i32_e32 v45, 31, v45
	v_and_b32_e32 v35, v35, v36
	v_not_b32_e32 v36, v47
	v_xor_b32_e32 v41, s18, v41
	v_cmp_gt_i32_e64 s18, 0, v47
	v_xor_b32_e32 v45, s19, v45
	v_and_b32_e32 v35, v35, v40
	v_not_b32_e32 v40, v44
	v_ashrrev_i32_e32 v36, 31, v36
	v_cmp_gt_i32_e64 s19, 0, v44
	v_mul_u32_u24_e32 v44, 9, v1
	v_and_b32_e32 v35, v35, v41
	v_bfe_u32 v41, v0, 20, 10
	v_ashrrev_i32_e32 v40, 31, v40
	v_xor_b32_e32 v36, s18, v36
	s_delay_alu instid0(VALU_DEP_4) | instskip(NEXT) | instid1(VALU_DEP_4)
	v_and_b32_e32 v35, v35, v45
	v_mad_u32_u24 v34, v41, s21, v34
	s_delay_alu instid0(VALU_DEP_4)
	v_xor_b32_e32 v40, s19, v40
	v_lshlrev_b32_e32 v45, 2, v44
	ds_store_2addr_b32 v45, v37, v37 offset0:8 offset1:9
	ds_store_2addr_b32 v45, v37, v37 offset0:10 offset1:11
	;; [unrolled: 1-line block ×4, first 2 shown]
	v_and_b32_e32 v41, v35, v36
	ds_store_b32 v45, v37 offset:64
	s_waitcnt vmcnt(0) lgkmcnt(0)
	s_barrier
	buffer_gl0_inv
	; wave barrier
	v_mad_u64_u32 v[35:36], null, v34, v38, v[1:2]
	v_and_b32_e32 v34, v41, v40
	s_delay_alu instid0(VALU_DEP_1) | instskip(NEXT) | instid1(VALU_DEP_3)
	v_mbcnt_lo_u32_b32 v44, v34, 0
	v_lshrrev_b32_e32 v36, 5, v35
	v_lshl_add_u32 v35, v39, 3, v39
	v_cmp_ne_u32_e64 s19, 0, v34
	s_delay_alu instid0(VALU_DEP_4) | instskip(NEXT) | instid1(VALU_DEP_3)
	v_cmp_eq_u32_e64 s18, 0, v44
	v_add_lshl_u32 v46, v36, v35, 2
	s_delay_alu instid0(VALU_DEP_2) | instskip(NEXT) | instid1(SALU_CYCLE_1)
	s_and_b32 s19, s19, s18
	s_and_saveexec_b32 s18, s19
	s_cbranch_execz .LBB14_35
; %bb.34:
	v_bcnt_u32_b32 v34, v34, 0
	ds_store_b32 v46, v34 offset:32
.LBB14_35:
	s_or_b32 exec_lo, exec_lo, s18
	v_xor_b32_e32 v7, 0x7fffffff, v7
	v_not_b32_e32 v6, v6
	; wave barrier
	s_delay_alu instid0(VALU_DEP_1) | instskip(NEXT) | instid1(VALU_DEP_1)
	v_lshrrev_b64 v[34:35], s48, v[6:7]
	v_and_b32_e32 v34, s55, v34
	s_delay_alu instid0(VALU_DEP_1)
	v_and_b32_e32 v35, 1, v34
	v_lshlrev_b32_e32 v37, 30, v34
	v_lshlrev_b32_e32 v38, 29, v34
	;; [unrolled: 1-line block ×4, first 2 shown]
	v_add_co_u32 v35, s18, v35, -1
	s_delay_alu instid0(VALU_DEP_1)
	v_cndmask_b32_e64 v40, 0, 1, s18
	v_not_b32_e32 v49, v37
	v_cmp_gt_i32_e64 s19, 0, v37
	v_not_b32_e32 v37, v38
	v_lshlrev_b32_e32 v47, 26, v34
	v_cmp_ne_u32_e64 s18, 0, v40
	v_ashrrev_i32_e32 v49, 31, v49
	v_lshlrev_b32_e32 v48, 25, v34
	v_ashrrev_i32_e32 v37, 31, v37
	v_lshlrev_b32_e32 v40, 24, v34
	v_xor_b32_e32 v35, s18, v35
	v_cmp_gt_i32_e64 s18, 0, v38
	v_not_b32_e32 v38, v39
	v_xor_b32_e32 v49, s19, v49
	v_cmp_gt_i32_e64 s19, 0, v39
	v_and_b32_e32 v35, exec_lo, v35
	v_not_b32_e32 v39, v41
	v_ashrrev_i32_e32 v38, 31, v38
	v_xor_b32_e32 v37, s18, v37
	v_cmp_gt_i32_e64 s18, 0, v41
	v_and_b32_e32 v35, v35, v49
	v_not_b32_e32 v41, v47
	v_ashrrev_i32_e32 v39, 31, v39
	v_xor_b32_e32 v38, s19, v38
	v_cmp_gt_i32_e64 s19, 0, v47
	v_and_b32_e32 v35, v35, v37
	;; [unrolled: 5-line block ×3, first 2 shown]
	v_not_b32_e32 v38, v40
	v_ashrrev_i32_e32 v37, 31, v37
	v_xor_b32_e32 v41, s19, v41
	v_lshl_add_u32 v34, v34, 3, v34
	v_and_b32_e32 v35, v35, v39
	v_cmp_gt_i32_e64 s19, 0, v40
	v_ashrrev_i32_e32 v38, 31, v38
	v_xor_b32_e32 v37, s18, v37
	v_add_lshl_u32 v49, v36, v34, 2
	v_and_b32_e32 v35, v35, v41
	s_delay_alu instid0(VALU_DEP_4) | instskip(SKIP_2) | instid1(VALU_DEP_1)
	v_xor_b32_e32 v34, s19, v38
	ds_load_b32 v47, v49 offset:32
	v_and_b32_e32 v35, v35, v37
	; wave barrier
	v_and_b32_e32 v34, v35, v34
	s_delay_alu instid0(VALU_DEP_1) | instskip(SKIP_1) | instid1(VALU_DEP_2)
	v_mbcnt_lo_u32_b32 v48, v34, 0
	v_cmp_ne_u32_e64 s19, 0, v34
	v_cmp_eq_u32_e64 s18, 0, v48
	s_delay_alu instid0(VALU_DEP_1) | instskip(NEXT) | instid1(SALU_CYCLE_1)
	s_and_b32 s19, s19, s18
	s_and_saveexec_b32 s18, s19
	s_cbranch_execz .LBB14_37
; %bb.36:
	s_waitcnt lgkmcnt(0)
	v_bcnt_u32_b32 v34, v34, v47
	ds_store_b32 v49, v34 offset:32
.LBB14_37:
	s_or_b32 exec_lo, exec_lo, s18
	v_xor_b32_e32 v9, 0x7fffffff, v9
	v_not_b32_e32 v8, v8
	; wave barrier
	s_delay_alu instid0(VALU_DEP_1) | instskip(NEXT) | instid1(VALU_DEP_1)
	v_lshrrev_b64 v[34:35], s48, v[8:9]
	v_and_b32_e32 v34, s55, v34
	s_delay_alu instid0(VALU_DEP_1)
	v_and_b32_e32 v35, 1, v34
	v_lshlrev_b32_e32 v37, 30, v34
	v_lshlrev_b32_e32 v38, 29, v34
	;; [unrolled: 1-line block ×4, first 2 shown]
	v_add_co_u32 v35, s18, v35, -1
	s_delay_alu instid0(VALU_DEP_1)
	v_cndmask_b32_e64 v40, 0, 1, s18
	v_not_b32_e32 v52, v37
	v_cmp_gt_i32_e64 s19, 0, v37
	v_not_b32_e32 v37, v38
	v_lshlrev_b32_e32 v50, 26, v34
	v_cmp_ne_u32_e64 s18, 0, v40
	v_ashrrev_i32_e32 v52, 31, v52
	v_lshlrev_b32_e32 v51, 25, v34
	v_ashrrev_i32_e32 v37, 31, v37
	v_lshlrev_b32_e32 v40, 24, v34
	v_xor_b32_e32 v35, s18, v35
	v_cmp_gt_i32_e64 s18, 0, v38
	v_not_b32_e32 v38, v39
	v_xor_b32_e32 v52, s19, v52
	v_cmp_gt_i32_e64 s19, 0, v39
	v_and_b32_e32 v35, exec_lo, v35
	v_not_b32_e32 v39, v41
	v_ashrrev_i32_e32 v38, 31, v38
	v_xor_b32_e32 v37, s18, v37
	v_cmp_gt_i32_e64 s18, 0, v41
	v_and_b32_e32 v35, v35, v52
	v_not_b32_e32 v41, v50
	v_ashrrev_i32_e32 v39, 31, v39
	v_xor_b32_e32 v38, s19, v38
	v_cmp_gt_i32_e64 s19, 0, v50
	v_and_b32_e32 v35, v35, v37
	;; [unrolled: 5-line block ×3, first 2 shown]
	v_not_b32_e32 v38, v40
	v_ashrrev_i32_e32 v37, 31, v37
	v_xor_b32_e32 v41, s19, v41
	v_lshl_add_u32 v34, v34, 3, v34
	v_and_b32_e32 v35, v35, v39
	v_cmp_gt_i32_e64 s19, 0, v40
	v_ashrrev_i32_e32 v38, 31, v38
	v_xor_b32_e32 v37, s18, v37
	v_add_lshl_u32 v52, v36, v34, 2
	v_and_b32_e32 v35, v35, v41
	s_delay_alu instid0(VALU_DEP_4) | instskip(SKIP_2) | instid1(VALU_DEP_1)
	v_xor_b32_e32 v34, s19, v38
	ds_load_b32 v50, v52 offset:32
	v_and_b32_e32 v35, v35, v37
	; wave barrier
	v_and_b32_e32 v34, v35, v34
	s_delay_alu instid0(VALU_DEP_1) | instskip(SKIP_1) | instid1(VALU_DEP_2)
	v_mbcnt_lo_u32_b32 v51, v34, 0
	v_cmp_ne_u32_e64 s19, 0, v34
	v_cmp_eq_u32_e64 s18, 0, v51
	s_delay_alu instid0(VALU_DEP_1) | instskip(NEXT) | instid1(SALU_CYCLE_1)
	s_and_b32 s19, s19, s18
	s_and_saveexec_b32 s18, s19
	s_cbranch_execz .LBB14_39
; %bb.38:
	s_waitcnt lgkmcnt(0)
	v_bcnt_u32_b32 v34, v34, v50
	ds_store_b32 v52, v34 offset:32
.LBB14_39:
	s_or_b32 exec_lo, exec_lo, s18
	v_xor_b32_e32 v11, 0x7fffffff, v11
	v_not_b32_e32 v10, v10
	; wave barrier
	s_delay_alu instid0(VALU_DEP_1) | instskip(NEXT) | instid1(VALU_DEP_1)
	v_lshrrev_b64 v[34:35], s48, v[10:11]
	v_and_b32_e32 v34, s55, v34
	s_delay_alu instid0(VALU_DEP_1)
	v_and_b32_e32 v35, 1, v34
	v_lshlrev_b32_e32 v37, 30, v34
	v_lshlrev_b32_e32 v38, 29, v34
	;; [unrolled: 1-line block ×4, first 2 shown]
	v_add_co_u32 v35, s18, v35, -1
	s_delay_alu instid0(VALU_DEP_1)
	v_cndmask_b32_e64 v40, 0, 1, s18
	v_not_b32_e32 v55, v37
	v_cmp_gt_i32_e64 s19, 0, v37
	v_not_b32_e32 v37, v38
	v_lshlrev_b32_e32 v53, 26, v34
	v_cmp_ne_u32_e64 s18, 0, v40
	v_ashrrev_i32_e32 v55, 31, v55
	v_lshlrev_b32_e32 v54, 25, v34
	v_ashrrev_i32_e32 v37, 31, v37
	v_lshlrev_b32_e32 v40, 24, v34
	v_xor_b32_e32 v35, s18, v35
	v_cmp_gt_i32_e64 s18, 0, v38
	v_not_b32_e32 v38, v39
	v_xor_b32_e32 v55, s19, v55
	v_cmp_gt_i32_e64 s19, 0, v39
	v_and_b32_e32 v35, exec_lo, v35
	v_not_b32_e32 v39, v41
	v_ashrrev_i32_e32 v38, 31, v38
	v_xor_b32_e32 v37, s18, v37
	v_cmp_gt_i32_e64 s18, 0, v41
	v_and_b32_e32 v35, v35, v55
	v_not_b32_e32 v41, v53
	v_ashrrev_i32_e32 v39, 31, v39
	v_xor_b32_e32 v38, s19, v38
	v_cmp_gt_i32_e64 s19, 0, v53
	v_and_b32_e32 v35, v35, v37
	;; [unrolled: 5-line block ×3, first 2 shown]
	v_not_b32_e32 v38, v40
	v_ashrrev_i32_e32 v37, 31, v37
	v_xor_b32_e32 v41, s19, v41
	v_lshl_add_u32 v34, v34, 3, v34
	v_and_b32_e32 v35, v35, v39
	v_cmp_gt_i32_e64 s19, 0, v40
	v_ashrrev_i32_e32 v38, 31, v38
	v_xor_b32_e32 v37, s18, v37
	v_add_lshl_u32 v55, v36, v34, 2
	v_and_b32_e32 v35, v35, v41
	s_delay_alu instid0(VALU_DEP_4) | instskip(SKIP_2) | instid1(VALU_DEP_1)
	v_xor_b32_e32 v34, s19, v38
	ds_load_b32 v53, v55 offset:32
	v_and_b32_e32 v35, v35, v37
	; wave barrier
	v_and_b32_e32 v34, v35, v34
	s_delay_alu instid0(VALU_DEP_1) | instskip(SKIP_1) | instid1(VALU_DEP_2)
	v_mbcnt_lo_u32_b32 v54, v34, 0
	v_cmp_ne_u32_e64 s19, 0, v34
	v_cmp_eq_u32_e64 s18, 0, v54
	s_delay_alu instid0(VALU_DEP_1) | instskip(NEXT) | instid1(SALU_CYCLE_1)
	s_and_b32 s19, s19, s18
	s_and_saveexec_b32 s18, s19
	s_cbranch_execz .LBB14_41
; %bb.40:
	s_waitcnt lgkmcnt(0)
	v_bcnt_u32_b32 v34, v34, v53
	ds_store_b32 v55, v34 offset:32
.LBB14_41:
	s_or_b32 exec_lo, exec_lo, s18
	v_xor_b32_e32 v17, 0x7fffffff, v17
	v_not_b32_e32 v16, v16
	; wave barrier
	s_delay_alu instid0(VALU_DEP_1) | instskip(NEXT) | instid1(VALU_DEP_1)
	v_lshrrev_b64 v[34:35], s48, v[16:17]
	v_and_b32_e32 v34, s55, v34
	s_delay_alu instid0(VALU_DEP_1)
	v_and_b32_e32 v35, 1, v34
	v_lshlrev_b32_e32 v37, 30, v34
	v_lshlrev_b32_e32 v38, 29, v34
	;; [unrolled: 1-line block ×4, first 2 shown]
	v_add_co_u32 v35, s18, v35, -1
	s_delay_alu instid0(VALU_DEP_1)
	v_cndmask_b32_e64 v40, 0, 1, s18
	v_not_b32_e32 v58, v37
	v_cmp_gt_i32_e64 s19, 0, v37
	v_not_b32_e32 v37, v38
	v_lshlrev_b32_e32 v56, 26, v34
	v_cmp_ne_u32_e64 s18, 0, v40
	v_ashrrev_i32_e32 v58, 31, v58
	v_lshlrev_b32_e32 v57, 25, v34
	v_ashrrev_i32_e32 v37, 31, v37
	v_lshlrev_b32_e32 v40, 24, v34
	v_xor_b32_e32 v35, s18, v35
	v_cmp_gt_i32_e64 s18, 0, v38
	v_not_b32_e32 v38, v39
	v_xor_b32_e32 v58, s19, v58
	v_cmp_gt_i32_e64 s19, 0, v39
	v_and_b32_e32 v35, exec_lo, v35
	v_not_b32_e32 v39, v41
	v_ashrrev_i32_e32 v38, 31, v38
	v_xor_b32_e32 v37, s18, v37
	v_cmp_gt_i32_e64 s18, 0, v41
	v_and_b32_e32 v35, v35, v58
	v_not_b32_e32 v41, v56
	v_ashrrev_i32_e32 v39, 31, v39
	v_xor_b32_e32 v38, s19, v38
	v_cmp_gt_i32_e64 s19, 0, v56
	v_and_b32_e32 v35, v35, v37
	;; [unrolled: 5-line block ×3, first 2 shown]
	v_not_b32_e32 v38, v40
	v_ashrrev_i32_e32 v37, 31, v37
	v_xor_b32_e32 v41, s19, v41
	v_lshl_add_u32 v34, v34, 3, v34
	v_and_b32_e32 v35, v35, v39
	v_cmp_gt_i32_e64 s19, 0, v40
	v_ashrrev_i32_e32 v38, 31, v38
	v_xor_b32_e32 v37, s18, v37
	v_add_lshl_u32 v58, v36, v34, 2
	v_and_b32_e32 v35, v35, v41
	s_delay_alu instid0(VALU_DEP_4) | instskip(SKIP_2) | instid1(VALU_DEP_1)
	v_xor_b32_e32 v34, s19, v38
	ds_load_b32 v56, v58 offset:32
	v_and_b32_e32 v35, v35, v37
	; wave barrier
	v_and_b32_e32 v34, v35, v34
	s_delay_alu instid0(VALU_DEP_1) | instskip(SKIP_1) | instid1(VALU_DEP_2)
	v_mbcnt_lo_u32_b32 v57, v34, 0
	v_cmp_ne_u32_e64 s19, 0, v34
	v_cmp_eq_u32_e64 s18, 0, v57
	s_delay_alu instid0(VALU_DEP_1) | instskip(NEXT) | instid1(SALU_CYCLE_1)
	s_and_b32 s19, s19, s18
	s_and_saveexec_b32 s18, s19
	s_cbranch_execz .LBB14_43
; %bb.42:
	s_waitcnt lgkmcnt(0)
	v_bcnt_u32_b32 v34, v34, v56
	ds_store_b32 v58, v34 offset:32
.LBB14_43:
	s_or_b32 exec_lo, exec_lo, s18
	v_xor_b32_e32 v21, 0x7fffffff, v21
	v_not_b32_e32 v20, v20
	; wave barrier
	s_delay_alu instid0(VALU_DEP_1) | instskip(NEXT) | instid1(VALU_DEP_1)
	v_lshrrev_b64 v[34:35], s48, v[20:21]
	v_and_b32_e32 v34, s55, v34
	s_delay_alu instid0(VALU_DEP_1)
	v_and_b32_e32 v35, 1, v34
	v_lshlrev_b32_e32 v37, 30, v34
	v_lshlrev_b32_e32 v38, 29, v34
	;; [unrolled: 1-line block ×4, first 2 shown]
	v_add_co_u32 v35, s18, v35, -1
	s_delay_alu instid0(VALU_DEP_1)
	v_cndmask_b32_e64 v40, 0, 1, s18
	v_not_b32_e32 v61, v37
	v_cmp_gt_i32_e64 s19, 0, v37
	v_not_b32_e32 v37, v38
	v_lshlrev_b32_e32 v59, 26, v34
	v_cmp_ne_u32_e64 s18, 0, v40
	v_ashrrev_i32_e32 v61, 31, v61
	v_lshlrev_b32_e32 v60, 25, v34
	v_ashrrev_i32_e32 v37, 31, v37
	v_lshlrev_b32_e32 v40, 24, v34
	v_xor_b32_e32 v35, s18, v35
	v_cmp_gt_i32_e64 s18, 0, v38
	v_not_b32_e32 v38, v39
	v_xor_b32_e32 v61, s19, v61
	v_cmp_gt_i32_e64 s19, 0, v39
	v_and_b32_e32 v35, exec_lo, v35
	v_not_b32_e32 v39, v41
	v_ashrrev_i32_e32 v38, 31, v38
	v_xor_b32_e32 v37, s18, v37
	v_cmp_gt_i32_e64 s18, 0, v41
	v_and_b32_e32 v35, v35, v61
	v_not_b32_e32 v41, v59
	v_ashrrev_i32_e32 v39, 31, v39
	v_xor_b32_e32 v38, s19, v38
	v_cmp_gt_i32_e64 s19, 0, v59
	v_and_b32_e32 v35, v35, v37
	v_not_b32_e32 v37, v60
	v_ashrrev_i32_e32 v41, 31, v41
	v_xor_b32_e32 v39, s18, v39
	v_cmp_gt_i32_e64 s18, 0, v60
	v_and_b32_e32 v35, v35, v38
	v_not_b32_e32 v38, v40
	v_ashrrev_i32_e32 v37, 31, v37
	v_xor_b32_e32 v41, s19, v41
	v_lshl_add_u32 v34, v34, 3, v34
	v_and_b32_e32 v35, v35, v39
	v_cmp_gt_i32_e64 s19, 0, v40
	v_ashrrev_i32_e32 v38, 31, v38
	v_xor_b32_e32 v37, s18, v37
	v_add_lshl_u32 v61, v36, v34, 2
	v_and_b32_e32 v35, v35, v41
	s_delay_alu instid0(VALU_DEP_4) | instskip(SKIP_2) | instid1(VALU_DEP_1)
	v_xor_b32_e32 v34, s19, v38
	ds_load_b32 v59, v61 offset:32
	v_and_b32_e32 v35, v35, v37
	; wave barrier
	v_and_b32_e32 v34, v35, v34
	s_delay_alu instid0(VALU_DEP_1) | instskip(SKIP_1) | instid1(VALU_DEP_2)
	v_mbcnt_lo_u32_b32 v60, v34, 0
	v_cmp_ne_u32_e64 s19, 0, v34
	v_cmp_eq_u32_e64 s18, 0, v60
	s_delay_alu instid0(VALU_DEP_1) | instskip(NEXT) | instid1(SALU_CYCLE_1)
	s_and_b32 s19, s19, s18
	s_and_saveexec_b32 s18, s19
	s_cbranch_execz .LBB14_45
; %bb.44:
	s_waitcnt lgkmcnt(0)
	v_bcnt_u32_b32 v34, v34, v59
	ds_store_b32 v61, v34 offset:32
.LBB14_45:
	s_or_b32 exec_lo, exec_lo, s18
	v_xor_b32_e32 v25, 0x7fffffff, v25
	v_not_b32_e32 v24, v24
	; wave barrier
	s_delay_alu instid0(VALU_DEP_1) | instskip(NEXT) | instid1(VALU_DEP_1)
	v_lshrrev_b64 v[34:35], s48, v[24:25]
	v_and_b32_e32 v34, s55, v34
	s_delay_alu instid0(VALU_DEP_1)
	v_and_b32_e32 v35, 1, v34
	v_lshlrev_b32_e32 v37, 30, v34
	v_lshlrev_b32_e32 v38, 29, v34
	;; [unrolled: 1-line block ×4, first 2 shown]
	v_add_co_u32 v35, s18, v35, -1
	s_delay_alu instid0(VALU_DEP_1)
	v_cndmask_b32_e64 v40, 0, 1, s18
	v_not_b32_e32 v64, v37
	v_cmp_gt_i32_e64 s19, 0, v37
	v_not_b32_e32 v37, v38
	v_lshlrev_b32_e32 v62, 26, v34
	v_cmp_ne_u32_e64 s18, 0, v40
	v_ashrrev_i32_e32 v64, 31, v64
	v_lshlrev_b32_e32 v63, 25, v34
	v_ashrrev_i32_e32 v37, 31, v37
	v_lshlrev_b32_e32 v40, 24, v34
	v_xor_b32_e32 v35, s18, v35
	v_cmp_gt_i32_e64 s18, 0, v38
	v_not_b32_e32 v38, v39
	v_xor_b32_e32 v64, s19, v64
	v_cmp_gt_i32_e64 s19, 0, v39
	v_and_b32_e32 v35, exec_lo, v35
	v_not_b32_e32 v39, v41
	v_ashrrev_i32_e32 v38, 31, v38
	v_xor_b32_e32 v37, s18, v37
	v_cmp_gt_i32_e64 s18, 0, v41
	v_and_b32_e32 v35, v35, v64
	v_not_b32_e32 v41, v62
	v_ashrrev_i32_e32 v39, 31, v39
	v_xor_b32_e32 v38, s19, v38
	v_cmp_gt_i32_e64 s19, 0, v62
	v_and_b32_e32 v35, v35, v37
	;; [unrolled: 5-line block ×3, first 2 shown]
	v_not_b32_e32 v38, v40
	v_ashrrev_i32_e32 v37, 31, v37
	v_xor_b32_e32 v41, s19, v41
	v_lshl_add_u32 v34, v34, 3, v34
	v_and_b32_e32 v35, v35, v39
	v_cmp_gt_i32_e64 s19, 0, v40
	v_ashrrev_i32_e32 v38, 31, v38
	v_xor_b32_e32 v37, s18, v37
	v_add_lshl_u32 v64, v36, v34, 2
	v_and_b32_e32 v35, v35, v41
	s_delay_alu instid0(VALU_DEP_4) | instskip(SKIP_2) | instid1(VALU_DEP_1)
	v_xor_b32_e32 v34, s19, v38
	ds_load_b32 v62, v64 offset:32
	v_and_b32_e32 v35, v35, v37
	; wave barrier
	v_and_b32_e32 v34, v35, v34
	s_delay_alu instid0(VALU_DEP_1) | instskip(SKIP_1) | instid1(VALU_DEP_2)
	v_mbcnt_lo_u32_b32 v63, v34, 0
	v_cmp_ne_u32_e64 s19, 0, v34
	v_cmp_eq_u32_e64 s18, 0, v63
	s_delay_alu instid0(VALU_DEP_1) | instskip(NEXT) | instid1(SALU_CYCLE_1)
	s_and_b32 s19, s19, s18
	s_and_saveexec_b32 s18, s19
	s_cbranch_execz .LBB14_47
; %bb.46:
	s_waitcnt lgkmcnt(0)
	v_bcnt_u32_b32 v34, v34, v62
	ds_store_b32 v64, v34 offset:32
.LBB14_47:
	s_or_b32 exec_lo, exec_lo, s18
	v_xor_b32_e32 v29, 0x7fffffff, v29
	v_not_b32_e32 v28, v28
	; wave barrier
	s_delay_alu instid0(VALU_DEP_1) | instskip(NEXT) | instid1(VALU_DEP_1)
	v_lshrrev_b64 v[34:35], s48, v[28:29]
	v_and_b32_e32 v34, s55, v34
	s_delay_alu instid0(VALU_DEP_1)
	v_and_b32_e32 v35, 1, v34
	v_lshlrev_b32_e32 v37, 30, v34
	v_lshlrev_b32_e32 v38, 29, v34
	;; [unrolled: 1-line block ×4, first 2 shown]
	v_add_co_u32 v35, s18, v35, -1
	s_delay_alu instid0(VALU_DEP_1)
	v_cndmask_b32_e64 v40, 0, 1, s18
	v_not_b32_e32 v67, v37
	v_cmp_gt_i32_e64 s19, 0, v37
	v_not_b32_e32 v37, v38
	v_lshlrev_b32_e32 v65, 26, v34
	v_cmp_ne_u32_e64 s18, 0, v40
	v_ashrrev_i32_e32 v67, 31, v67
	v_lshlrev_b32_e32 v66, 25, v34
	v_ashrrev_i32_e32 v37, 31, v37
	v_lshlrev_b32_e32 v40, 24, v34
	v_xor_b32_e32 v35, s18, v35
	v_cmp_gt_i32_e64 s18, 0, v38
	v_not_b32_e32 v38, v39
	v_xor_b32_e32 v67, s19, v67
	v_cmp_gt_i32_e64 s19, 0, v39
	v_and_b32_e32 v35, exec_lo, v35
	v_not_b32_e32 v39, v41
	v_ashrrev_i32_e32 v38, 31, v38
	v_xor_b32_e32 v37, s18, v37
	v_cmp_gt_i32_e64 s18, 0, v41
	v_and_b32_e32 v35, v35, v67
	v_not_b32_e32 v41, v65
	v_ashrrev_i32_e32 v39, 31, v39
	v_xor_b32_e32 v38, s19, v38
	v_cmp_gt_i32_e64 s19, 0, v65
	v_and_b32_e32 v35, v35, v37
	;; [unrolled: 5-line block ×3, first 2 shown]
	v_not_b32_e32 v38, v40
	v_ashrrev_i32_e32 v37, 31, v37
	v_xor_b32_e32 v41, s19, v41
	v_lshl_add_u32 v34, v34, 3, v34
	v_and_b32_e32 v35, v35, v39
	v_cmp_gt_i32_e64 s19, 0, v40
	v_ashrrev_i32_e32 v38, 31, v38
	v_xor_b32_e32 v37, s18, v37
	v_add_lshl_u32 v67, v36, v34, 2
	v_and_b32_e32 v35, v35, v41
	s_delay_alu instid0(VALU_DEP_4) | instskip(SKIP_2) | instid1(VALU_DEP_1)
	v_xor_b32_e32 v34, s19, v38
	ds_load_b32 v65, v67 offset:32
	v_and_b32_e32 v35, v35, v37
	; wave barrier
	v_and_b32_e32 v34, v35, v34
	s_delay_alu instid0(VALU_DEP_1) | instskip(SKIP_1) | instid1(VALU_DEP_2)
	v_mbcnt_lo_u32_b32 v66, v34, 0
	v_cmp_ne_u32_e64 s19, 0, v34
	v_cmp_eq_u32_e64 s18, 0, v66
	s_delay_alu instid0(VALU_DEP_1) | instskip(NEXT) | instid1(SALU_CYCLE_1)
	s_and_b32 s19, s19, s18
	s_and_saveexec_b32 s18, s19
	s_cbranch_execz .LBB14_49
; %bb.48:
	s_waitcnt lgkmcnt(0)
	v_bcnt_u32_b32 v34, v34, v65
	ds_store_b32 v67, v34 offset:32
.LBB14_49:
	s_or_b32 exec_lo, exec_lo, s18
	v_xor_b32_e32 v33, 0x7fffffff, v33
	v_not_b32_e32 v32, v32
	; wave barrier
	s_delay_alu instid0(VALU_DEP_1) | instskip(NEXT) | instid1(VALU_DEP_1)
	v_lshrrev_b64 v[34:35], s48, v[32:33]
	v_and_b32_e32 v34, s55, v34
	s_delay_alu instid0(VALU_DEP_1)
	v_and_b32_e32 v35, 1, v34
	v_lshlrev_b32_e32 v37, 30, v34
	v_lshlrev_b32_e32 v38, 29, v34
	;; [unrolled: 1-line block ×4, first 2 shown]
	v_add_co_u32 v35, s18, v35, -1
	s_delay_alu instid0(VALU_DEP_1)
	v_cndmask_b32_e64 v40, 0, 1, s18
	v_not_b32_e32 v70, v37
	v_cmp_gt_i32_e64 s19, 0, v37
	v_not_b32_e32 v37, v38
	v_lshlrev_b32_e32 v68, 26, v34
	v_cmp_ne_u32_e64 s18, 0, v40
	v_ashrrev_i32_e32 v70, 31, v70
	v_lshlrev_b32_e32 v69, 25, v34
	v_ashrrev_i32_e32 v37, 31, v37
	v_lshlrev_b32_e32 v40, 24, v34
	v_xor_b32_e32 v35, s18, v35
	v_cmp_gt_i32_e64 s18, 0, v38
	v_not_b32_e32 v38, v39
	v_xor_b32_e32 v70, s19, v70
	v_cmp_gt_i32_e64 s19, 0, v39
	v_and_b32_e32 v35, exec_lo, v35
	v_not_b32_e32 v39, v41
	v_ashrrev_i32_e32 v38, 31, v38
	v_xor_b32_e32 v37, s18, v37
	v_cmp_gt_i32_e64 s18, 0, v41
	v_and_b32_e32 v35, v35, v70
	v_not_b32_e32 v41, v68
	v_ashrrev_i32_e32 v39, 31, v39
	v_xor_b32_e32 v38, s19, v38
	v_cmp_gt_i32_e64 s19, 0, v68
	v_and_b32_e32 v35, v35, v37
	;; [unrolled: 5-line block ×3, first 2 shown]
	v_not_b32_e32 v38, v40
	v_ashrrev_i32_e32 v37, 31, v37
	v_xor_b32_e32 v41, s19, v41
	v_lshl_add_u32 v34, v34, 3, v34
	v_and_b32_e32 v35, v35, v39
	v_cmp_gt_i32_e64 s19, 0, v40
	v_ashrrev_i32_e32 v38, 31, v38
	v_xor_b32_e32 v37, s18, v37
	v_add_lshl_u32 v70, v36, v34, 2
	v_and_b32_e32 v35, v35, v41
	s_delay_alu instid0(VALU_DEP_4) | instskip(SKIP_2) | instid1(VALU_DEP_1)
	v_xor_b32_e32 v34, s19, v38
	ds_load_b32 v68, v70 offset:32
	v_and_b32_e32 v35, v35, v37
	; wave barrier
	v_and_b32_e32 v34, v35, v34
	s_delay_alu instid0(VALU_DEP_1) | instskip(SKIP_1) | instid1(VALU_DEP_2)
	v_mbcnt_lo_u32_b32 v69, v34, 0
	v_cmp_ne_u32_e64 s19, 0, v34
	v_cmp_eq_u32_e64 s18, 0, v69
	s_delay_alu instid0(VALU_DEP_1) | instskip(NEXT) | instid1(SALU_CYCLE_1)
	s_and_b32 s19, s19, s18
	s_and_saveexec_b32 s18, s19
	s_cbranch_execz .LBB14_51
; %bb.50:
	s_waitcnt lgkmcnt(0)
	v_bcnt_u32_b32 v34, v34, v68
	ds_store_b32 v70, v34 offset:32
.LBB14_51:
	s_or_b32 exec_lo, exec_lo, s18
	v_xor_b32_e32 v31, 0x7fffffff, v31
	v_not_b32_e32 v30, v30
	; wave barrier
	s_delay_alu instid0(VALU_DEP_1) | instskip(NEXT) | instid1(VALU_DEP_1)
	v_lshrrev_b64 v[34:35], s48, v[30:31]
	v_and_b32_e32 v34, s55, v34
	s_delay_alu instid0(VALU_DEP_1)
	v_and_b32_e32 v35, 1, v34
	v_lshlrev_b32_e32 v37, 30, v34
	v_lshlrev_b32_e32 v38, 29, v34
	;; [unrolled: 1-line block ×4, first 2 shown]
	v_add_co_u32 v35, s18, v35, -1
	s_delay_alu instid0(VALU_DEP_1)
	v_cndmask_b32_e64 v40, 0, 1, s18
	v_not_b32_e32 v73, v37
	v_cmp_gt_i32_e64 s19, 0, v37
	v_not_b32_e32 v37, v38
	v_lshlrev_b32_e32 v71, 26, v34
	v_cmp_ne_u32_e64 s18, 0, v40
	v_ashrrev_i32_e32 v73, 31, v73
	v_lshlrev_b32_e32 v72, 25, v34
	v_ashrrev_i32_e32 v37, 31, v37
	v_lshlrev_b32_e32 v40, 24, v34
	v_xor_b32_e32 v35, s18, v35
	v_cmp_gt_i32_e64 s18, 0, v38
	v_not_b32_e32 v38, v39
	v_xor_b32_e32 v73, s19, v73
	v_cmp_gt_i32_e64 s19, 0, v39
	v_and_b32_e32 v35, exec_lo, v35
	v_not_b32_e32 v39, v41
	v_ashrrev_i32_e32 v38, 31, v38
	v_xor_b32_e32 v37, s18, v37
	v_cmp_gt_i32_e64 s18, 0, v41
	v_and_b32_e32 v35, v35, v73
	v_not_b32_e32 v41, v71
	v_ashrrev_i32_e32 v39, 31, v39
	v_xor_b32_e32 v38, s19, v38
	v_cmp_gt_i32_e64 s19, 0, v71
	v_and_b32_e32 v35, v35, v37
	;; [unrolled: 5-line block ×3, first 2 shown]
	v_not_b32_e32 v38, v40
	v_ashrrev_i32_e32 v37, 31, v37
	v_xor_b32_e32 v41, s19, v41
	v_lshl_add_u32 v34, v34, 3, v34
	v_and_b32_e32 v35, v35, v39
	v_cmp_gt_i32_e64 s19, 0, v40
	v_ashrrev_i32_e32 v38, 31, v38
	v_xor_b32_e32 v37, s18, v37
	v_add_lshl_u32 v73, v36, v34, 2
	v_and_b32_e32 v35, v35, v41
	s_delay_alu instid0(VALU_DEP_4) | instskip(SKIP_2) | instid1(VALU_DEP_1)
	v_xor_b32_e32 v34, s19, v38
	ds_load_b32 v71, v73 offset:32
	v_and_b32_e32 v35, v35, v37
	; wave barrier
	v_and_b32_e32 v34, v35, v34
	s_delay_alu instid0(VALU_DEP_1) | instskip(SKIP_1) | instid1(VALU_DEP_2)
	v_mbcnt_lo_u32_b32 v72, v34, 0
	v_cmp_ne_u32_e64 s19, 0, v34
	v_cmp_eq_u32_e64 s18, 0, v72
	s_delay_alu instid0(VALU_DEP_1) | instskip(NEXT) | instid1(SALU_CYCLE_1)
	s_and_b32 s19, s19, s18
	s_and_saveexec_b32 s18, s19
	s_cbranch_execz .LBB14_53
; %bb.52:
	s_waitcnt lgkmcnt(0)
	v_bcnt_u32_b32 v34, v34, v71
	ds_store_b32 v73, v34 offset:32
.LBB14_53:
	s_or_b32 exec_lo, exec_lo, s18
	v_xor_b32_e32 v27, 0x7fffffff, v27
	v_not_b32_e32 v26, v26
	; wave barrier
	s_delay_alu instid0(VALU_DEP_1) | instskip(NEXT) | instid1(VALU_DEP_1)
	v_lshrrev_b64 v[34:35], s48, v[26:27]
	v_and_b32_e32 v34, s55, v34
	s_delay_alu instid0(VALU_DEP_1)
	v_and_b32_e32 v35, 1, v34
	v_lshlrev_b32_e32 v37, 30, v34
	v_lshlrev_b32_e32 v38, 29, v34
	;; [unrolled: 1-line block ×4, first 2 shown]
	v_add_co_u32 v35, s18, v35, -1
	s_delay_alu instid0(VALU_DEP_1)
	v_cndmask_b32_e64 v40, 0, 1, s18
	v_not_b32_e32 v76, v37
	v_cmp_gt_i32_e64 s19, 0, v37
	v_not_b32_e32 v37, v38
	v_lshlrev_b32_e32 v74, 26, v34
	v_cmp_ne_u32_e64 s18, 0, v40
	v_ashrrev_i32_e32 v76, 31, v76
	v_lshlrev_b32_e32 v75, 25, v34
	v_ashrrev_i32_e32 v37, 31, v37
	v_lshlrev_b32_e32 v40, 24, v34
	v_xor_b32_e32 v35, s18, v35
	v_cmp_gt_i32_e64 s18, 0, v38
	v_not_b32_e32 v38, v39
	v_xor_b32_e32 v76, s19, v76
	v_cmp_gt_i32_e64 s19, 0, v39
	v_and_b32_e32 v35, exec_lo, v35
	v_not_b32_e32 v39, v41
	v_ashrrev_i32_e32 v38, 31, v38
	v_xor_b32_e32 v37, s18, v37
	v_cmp_gt_i32_e64 s18, 0, v41
	v_and_b32_e32 v35, v35, v76
	v_not_b32_e32 v41, v74
	v_ashrrev_i32_e32 v39, 31, v39
	v_xor_b32_e32 v38, s19, v38
	v_cmp_gt_i32_e64 s19, 0, v74
	v_and_b32_e32 v35, v35, v37
	;; [unrolled: 5-line block ×3, first 2 shown]
	v_not_b32_e32 v38, v40
	v_ashrrev_i32_e32 v37, 31, v37
	v_xor_b32_e32 v41, s19, v41
	v_lshl_add_u32 v34, v34, 3, v34
	v_and_b32_e32 v35, v35, v39
	v_cmp_gt_i32_e64 s19, 0, v40
	v_ashrrev_i32_e32 v38, 31, v38
	v_xor_b32_e32 v37, s18, v37
	v_add_lshl_u32 v76, v36, v34, 2
	v_and_b32_e32 v35, v35, v41
	s_delay_alu instid0(VALU_DEP_4) | instskip(SKIP_2) | instid1(VALU_DEP_1)
	v_xor_b32_e32 v34, s19, v38
	ds_load_b32 v74, v76 offset:32
	v_and_b32_e32 v35, v35, v37
	; wave barrier
	v_and_b32_e32 v34, v35, v34
	s_delay_alu instid0(VALU_DEP_1) | instskip(SKIP_1) | instid1(VALU_DEP_2)
	v_mbcnt_lo_u32_b32 v75, v34, 0
	v_cmp_ne_u32_e64 s19, 0, v34
	v_cmp_eq_u32_e64 s18, 0, v75
	s_delay_alu instid0(VALU_DEP_1) | instskip(NEXT) | instid1(SALU_CYCLE_1)
	s_and_b32 s19, s19, s18
	s_and_saveexec_b32 s18, s19
	s_cbranch_execz .LBB14_55
; %bb.54:
	s_waitcnt lgkmcnt(0)
	v_bcnt_u32_b32 v34, v34, v74
	ds_store_b32 v76, v34 offset:32
.LBB14_55:
	s_or_b32 exec_lo, exec_lo, s18
	v_xor_b32_e32 v23, 0x7fffffff, v23
	v_not_b32_e32 v22, v22
	; wave barrier
	s_delay_alu instid0(VALU_DEP_1) | instskip(NEXT) | instid1(VALU_DEP_1)
	v_lshrrev_b64 v[34:35], s48, v[22:23]
	v_and_b32_e32 v34, s55, v34
	s_delay_alu instid0(VALU_DEP_1)
	v_and_b32_e32 v35, 1, v34
	v_lshlrev_b32_e32 v37, 30, v34
	v_lshlrev_b32_e32 v38, 29, v34
	;; [unrolled: 1-line block ×4, first 2 shown]
	v_add_co_u32 v35, s18, v35, -1
	s_delay_alu instid0(VALU_DEP_1)
	v_cndmask_b32_e64 v40, 0, 1, s18
	v_not_b32_e32 v79, v37
	v_cmp_gt_i32_e64 s19, 0, v37
	v_not_b32_e32 v37, v38
	v_lshlrev_b32_e32 v77, 26, v34
	v_cmp_ne_u32_e64 s18, 0, v40
	v_ashrrev_i32_e32 v79, 31, v79
	v_lshlrev_b32_e32 v78, 25, v34
	v_ashrrev_i32_e32 v37, 31, v37
	v_lshlrev_b32_e32 v40, 24, v34
	v_xor_b32_e32 v35, s18, v35
	v_cmp_gt_i32_e64 s18, 0, v38
	v_not_b32_e32 v38, v39
	v_xor_b32_e32 v79, s19, v79
	v_cmp_gt_i32_e64 s19, 0, v39
	v_and_b32_e32 v35, exec_lo, v35
	v_not_b32_e32 v39, v41
	v_ashrrev_i32_e32 v38, 31, v38
	v_xor_b32_e32 v37, s18, v37
	v_cmp_gt_i32_e64 s18, 0, v41
	v_and_b32_e32 v35, v35, v79
	v_not_b32_e32 v41, v77
	v_ashrrev_i32_e32 v39, 31, v39
	v_xor_b32_e32 v38, s19, v38
	v_cmp_gt_i32_e64 s19, 0, v77
	v_and_b32_e32 v35, v35, v37
	;; [unrolled: 5-line block ×3, first 2 shown]
	v_not_b32_e32 v38, v40
	v_ashrrev_i32_e32 v37, 31, v37
	v_xor_b32_e32 v41, s19, v41
	v_lshl_add_u32 v34, v34, 3, v34
	v_and_b32_e32 v35, v35, v39
	v_cmp_gt_i32_e64 s19, 0, v40
	v_ashrrev_i32_e32 v38, 31, v38
	v_xor_b32_e32 v37, s18, v37
	v_add_lshl_u32 v79, v36, v34, 2
	v_and_b32_e32 v35, v35, v41
	s_delay_alu instid0(VALU_DEP_4) | instskip(SKIP_2) | instid1(VALU_DEP_1)
	v_xor_b32_e32 v34, s19, v38
	ds_load_b32 v77, v79 offset:32
	v_and_b32_e32 v35, v35, v37
	; wave barrier
	v_and_b32_e32 v34, v35, v34
	s_delay_alu instid0(VALU_DEP_1) | instskip(SKIP_1) | instid1(VALU_DEP_2)
	v_mbcnt_lo_u32_b32 v78, v34, 0
	v_cmp_ne_u32_e64 s19, 0, v34
	v_cmp_eq_u32_e64 s18, 0, v78
	s_delay_alu instid0(VALU_DEP_1) | instskip(NEXT) | instid1(SALU_CYCLE_1)
	s_and_b32 s19, s19, s18
	s_and_saveexec_b32 s18, s19
	s_cbranch_execz .LBB14_57
; %bb.56:
	s_waitcnt lgkmcnt(0)
	v_bcnt_u32_b32 v34, v34, v77
	ds_store_b32 v79, v34 offset:32
.LBB14_57:
	s_or_b32 exec_lo, exec_lo, s18
	v_xor_b32_e32 v19, 0x7fffffff, v19
	v_not_b32_e32 v18, v18
	; wave barrier
	s_delay_alu instid0(VALU_DEP_1) | instskip(NEXT) | instid1(VALU_DEP_1)
	v_lshrrev_b64 v[34:35], s48, v[18:19]
	v_and_b32_e32 v34, s55, v34
	s_delay_alu instid0(VALU_DEP_1)
	v_and_b32_e32 v35, 1, v34
	v_lshlrev_b32_e32 v37, 30, v34
	v_lshlrev_b32_e32 v38, 29, v34
	;; [unrolled: 1-line block ×4, first 2 shown]
	v_add_co_u32 v35, s18, v35, -1
	s_delay_alu instid0(VALU_DEP_1)
	v_cndmask_b32_e64 v40, 0, 1, s18
	v_not_b32_e32 v82, v37
	v_cmp_gt_i32_e64 s19, 0, v37
	v_not_b32_e32 v37, v38
	v_lshlrev_b32_e32 v80, 26, v34
	v_cmp_ne_u32_e64 s18, 0, v40
	v_ashrrev_i32_e32 v82, 31, v82
	v_lshlrev_b32_e32 v81, 25, v34
	v_ashrrev_i32_e32 v37, 31, v37
	v_lshlrev_b32_e32 v40, 24, v34
	v_xor_b32_e32 v35, s18, v35
	v_cmp_gt_i32_e64 s18, 0, v38
	v_not_b32_e32 v38, v39
	v_xor_b32_e32 v82, s19, v82
	v_cmp_gt_i32_e64 s19, 0, v39
	v_and_b32_e32 v35, exec_lo, v35
	v_not_b32_e32 v39, v41
	v_ashrrev_i32_e32 v38, 31, v38
	v_xor_b32_e32 v37, s18, v37
	v_cmp_gt_i32_e64 s18, 0, v41
	v_and_b32_e32 v35, v35, v82
	v_not_b32_e32 v41, v80
	v_ashrrev_i32_e32 v39, 31, v39
	v_xor_b32_e32 v38, s19, v38
	v_cmp_gt_i32_e64 s19, 0, v80
	v_and_b32_e32 v35, v35, v37
	;; [unrolled: 5-line block ×3, first 2 shown]
	v_not_b32_e32 v38, v40
	v_ashrrev_i32_e32 v37, 31, v37
	v_xor_b32_e32 v41, s19, v41
	v_lshl_add_u32 v34, v34, 3, v34
	v_and_b32_e32 v35, v35, v39
	v_cmp_gt_i32_e64 s19, 0, v40
	v_ashrrev_i32_e32 v38, 31, v38
	v_xor_b32_e32 v37, s18, v37
	v_add_lshl_u32 v82, v36, v34, 2
	v_and_b32_e32 v35, v35, v41
	s_delay_alu instid0(VALU_DEP_4) | instskip(SKIP_2) | instid1(VALU_DEP_1)
	v_xor_b32_e32 v34, s19, v38
	ds_load_b32 v80, v82 offset:32
	v_and_b32_e32 v35, v35, v37
	; wave barrier
	v_and_b32_e32 v34, v35, v34
	s_delay_alu instid0(VALU_DEP_1) | instskip(SKIP_1) | instid1(VALU_DEP_2)
	v_mbcnt_lo_u32_b32 v81, v34, 0
	v_cmp_ne_u32_e64 s19, 0, v34
	v_cmp_eq_u32_e64 s18, 0, v81
	s_delay_alu instid0(VALU_DEP_1) | instskip(NEXT) | instid1(SALU_CYCLE_1)
	s_and_b32 s19, s19, s18
	s_and_saveexec_b32 s18, s19
	s_cbranch_execz .LBB14_59
; %bb.58:
	s_waitcnt lgkmcnt(0)
	v_bcnt_u32_b32 v34, v34, v80
	ds_store_b32 v82, v34 offset:32
.LBB14_59:
	s_or_b32 exec_lo, exec_lo, s18
	v_xor_b32_e32 v15, 0x7fffffff, v15
	v_not_b32_e32 v14, v14
	; wave barrier
	s_delay_alu instid0(VALU_DEP_1) | instskip(NEXT) | instid1(VALU_DEP_1)
	v_lshrrev_b64 v[34:35], s48, v[14:15]
	v_and_b32_e32 v34, s55, v34
	s_delay_alu instid0(VALU_DEP_1)
	v_and_b32_e32 v35, 1, v34
	v_lshlrev_b32_e32 v37, 30, v34
	v_lshlrev_b32_e32 v38, 29, v34
	;; [unrolled: 1-line block ×4, first 2 shown]
	v_add_co_u32 v35, s18, v35, -1
	s_delay_alu instid0(VALU_DEP_1)
	v_cndmask_b32_e64 v40, 0, 1, s18
	v_not_b32_e32 v85, v37
	v_cmp_gt_i32_e64 s19, 0, v37
	v_not_b32_e32 v37, v38
	v_lshlrev_b32_e32 v83, 26, v34
	v_cmp_ne_u32_e64 s18, 0, v40
	v_ashrrev_i32_e32 v85, 31, v85
	v_lshlrev_b32_e32 v84, 25, v34
	v_ashrrev_i32_e32 v37, 31, v37
	v_lshlrev_b32_e32 v40, 24, v34
	v_xor_b32_e32 v35, s18, v35
	v_cmp_gt_i32_e64 s18, 0, v38
	v_not_b32_e32 v38, v39
	v_xor_b32_e32 v85, s19, v85
	v_cmp_gt_i32_e64 s19, 0, v39
	v_and_b32_e32 v35, exec_lo, v35
	v_not_b32_e32 v39, v41
	v_ashrrev_i32_e32 v38, 31, v38
	v_xor_b32_e32 v37, s18, v37
	v_cmp_gt_i32_e64 s18, 0, v41
	v_and_b32_e32 v35, v35, v85
	v_not_b32_e32 v41, v83
	v_ashrrev_i32_e32 v39, 31, v39
	v_xor_b32_e32 v38, s19, v38
	v_cmp_gt_i32_e64 s19, 0, v83
	v_and_b32_e32 v35, v35, v37
	;; [unrolled: 5-line block ×3, first 2 shown]
	v_not_b32_e32 v38, v40
	v_ashrrev_i32_e32 v37, 31, v37
	v_xor_b32_e32 v41, s19, v41
	v_lshl_add_u32 v34, v34, 3, v34
	v_and_b32_e32 v35, v35, v39
	v_cmp_gt_i32_e64 s19, 0, v40
	v_ashrrev_i32_e32 v38, 31, v38
	v_xor_b32_e32 v37, s18, v37
	v_add_lshl_u32 v85, v36, v34, 2
	v_and_b32_e32 v35, v35, v41
	s_delay_alu instid0(VALU_DEP_4) | instskip(SKIP_2) | instid1(VALU_DEP_1)
	v_xor_b32_e32 v34, s19, v38
	ds_load_b32 v83, v85 offset:32
	v_and_b32_e32 v35, v35, v37
	; wave barrier
	v_and_b32_e32 v34, v35, v34
	s_delay_alu instid0(VALU_DEP_1) | instskip(SKIP_1) | instid1(VALU_DEP_2)
	v_mbcnt_lo_u32_b32 v84, v34, 0
	v_cmp_ne_u32_e64 s19, 0, v34
	v_cmp_eq_u32_e64 s18, 0, v84
	s_delay_alu instid0(VALU_DEP_1) | instskip(NEXT) | instid1(SALU_CYCLE_1)
	s_and_b32 s19, s19, s18
	s_and_saveexec_b32 s18, s19
	s_cbranch_execz .LBB14_61
; %bb.60:
	s_waitcnt lgkmcnt(0)
	v_bcnt_u32_b32 v34, v34, v83
	ds_store_b32 v85, v34 offset:32
.LBB14_61:
	s_or_b32 exec_lo, exec_lo, s18
	v_xor_b32_e32 v13, 0x7fffffff, v13
	v_not_b32_e32 v12, v12
	; wave barrier
	s_delay_alu instid0(VALU_DEP_1) | instskip(NEXT) | instid1(VALU_DEP_1)
	v_lshrrev_b64 v[34:35], s48, v[12:13]
	v_and_b32_e32 v34, s55, v34
	s_delay_alu instid0(VALU_DEP_1)
	v_and_b32_e32 v35, 1, v34
	v_lshlrev_b32_e32 v37, 30, v34
	v_lshlrev_b32_e32 v38, 29, v34
	;; [unrolled: 1-line block ×4, first 2 shown]
	v_add_co_u32 v35, s18, v35, -1
	s_delay_alu instid0(VALU_DEP_1)
	v_cndmask_b32_e64 v40, 0, 1, s18
	v_not_b32_e32 v88, v37
	v_cmp_gt_i32_e64 s19, 0, v37
	v_not_b32_e32 v37, v38
	v_lshlrev_b32_e32 v86, 26, v34
	v_cmp_ne_u32_e64 s18, 0, v40
	v_ashrrev_i32_e32 v88, 31, v88
	v_lshlrev_b32_e32 v87, 25, v34
	v_ashrrev_i32_e32 v37, 31, v37
	v_lshlrev_b32_e32 v40, 24, v34
	v_xor_b32_e32 v35, s18, v35
	v_cmp_gt_i32_e64 s18, 0, v38
	v_not_b32_e32 v38, v39
	v_xor_b32_e32 v88, s19, v88
	v_cmp_gt_i32_e64 s19, 0, v39
	v_and_b32_e32 v35, exec_lo, v35
	v_not_b32_e32 v39, v41
	v_ashrrev_i32_e32 v38, 31, v38
	v_xor_b32_e32 v37, s18, v37
	v_cmp_gt_i32_e64 s18, 0, v41
	v_and_b32_e32 v35, v35, v88
	v_not_b32_e32 v41, v86
	v_ashrrev_i32_e32 v39, 31, v39
	v_xor_b32_e32 v38, s19, v38
	v_cmp_gt_i32_e64 s19, 0, v86
	v_and_b32_e32 v35, v35, v37
	;; [unrolled: 5-line block ×3, first 2 shown]
	v_not_b32_e32 v38, v40
	v_ashrrev_i32_e32 v37, 31, v37
	v_xor_b32_e32 v41, s19, v41
	v_lshl_add_u32 v34, v34, 3, v34
	v_and_b32_e32 v35, v35, v39
	v_cmp_gt_i32_e64 s19, 0, v40
	v_ashrrev_i32_e32 v38, 31, v38
	v_xor_b32_e32 v37, s18, v37
	v_add_lshl_u32 v88, v36, v34, 2
	v_and_b32_e32 v35, v35, v41
	s_delay_alu instid0(VALU_DEP_4) | instskip(SKIP_2) | instid1(VALU_DEP_1)
	v_xor_b32_e32 v34, s19, v38
	ds_load_b32 v86, v88 offset:32
	v_and_b32_e32 v35, v35, v37
	; wave barrier
	v_and_b32_e32 v34, v35, v34
	s_delay_alu instid0(VALU_DEP_1) | instskip(SKIP_1) | instid1(VALU_DEP_2)
	v_mbcnt_lo_u32_b32 v87, v34, 0
	v_cmp_ne_u32_e64 s19, 0, v34
	v_cmp_eq_u32_e64 s18, 0, v87
	s_delay_alu instid0(VALU_DEP_1) | instskip(NEXT) | instid1(SALU_CYCLE_1)
	s_and_b32 s19, s19, s18
	s_and_saveexec_b32 s18, s19
	s_cbranch_execz .LBB14_63
; %bb.62:
	s_waitcnt lgkmcnt(0)
	v_bcnt_u32_b32 v34, v34, v86
	ds_store_b32 v88, v34 offset:32
.LBB14_63:
	s_or_b32 exec_lo, exec_lo, s18
	v_xor_b32_e32 v35, 0x7fffffff, v3
	v_not_b32_e32 v34, v2
	; wave barrier
	v_add_nc_u32_e32 v92, 32, v45
	s_delay_alu instid0(VALU_DEP_2) | instskip(NEXT) | instid1(VALU_DEP_1)
	v_lshrrev_b64 v[2:3], s48, v[34:35]
	v_and_b32_e32 v2, s55, v2
	s_delay_alu instid0(VALU_DEP_1)
	v_and_b32_e32 v3, 1, v2
	v_lshlrev_b32_e32 v37, 30, v2
	v_lshlrev_b32_e32 v38, 29, v2
	;; [unrolled: 1-line block ×4, first 2 shown]
	v_add_co_u32 v3, s18, v3, -1
	s_delay_alu instid0(VALU_DEP_1)
	v_cndmask_b32_e64 v40, 0, 1, s18
	v_not_b32_e32 v91, v37
	v_cmp_gt_i32_e64 s19, 0, v37
	v_not_b32_e32 v37, v38
	v_lshlrev_b32_e32 v89, 26, v2
	v_cmp_ne_u32_e64 s18, 0, v40
	v_ashrrev_i32_e32 v91, 31, v91
	v_lshlrev_b32_e32 v90, 25, v2
	v_ashrrev_i32_e32 v37, 31, v37
	v_lshlrev_b32_e32 v40, 24, v2
	v_xor_b32_e32 v3, s18, v3
	v_cmp_gt_i32_e64 s18, 0, v38
	v_not_b32_e32 v38, v39
	v_xor_b32_e32 v91, s19, v91
	v_cmp_gt_i32_e64 s19, 0, v39
	v_and_b32_e32 v3, exec_lo, v3
	v_not_b32_e32 v39, v41
	v_ashrrev_i32_e32 v38, 31, v38
	v_xor_b32_e32 v37, s18, v37
	v_cmp_gt_i32_e64 s18, 0, v41
	v_and_b32_e32 v3, v3, v91
	v_not_b32_e32 v41, v89
	v_ashrrev_i32_e32 v39, 31, v39
	v_xor_b32_e32 v38, s19, v38
	v_cmp_gt_i32_e64 s19, 0, v89
	v_and_b32_e32 v3, v3, v37
	;; [unrolled: 5-line block ×3, first 2 shown]
	v_not_b32_e32 v38, v40
	v_ashrrev_i32_e32 v37, 31, v37
	v_xor_b32_e32 v41, s19, v41
	v_lshl_add_u32 v2, v2, 3, v2
	v_and_b32_e32 v3, v3, v39
	v_cmp_gt_i32_e64 s19, 0, v40
	v_ashrrev_i32_e32 v38, 31, v38
	v_xor_b32_e32 v37, s18, v37
	v_add_lshl_u32 v91, v36, v2, 2
	v_and_b32_e32 v3, v3, v41
	s_delay_alu instid0(VALU_DEP_4) | instskip(SKIP_2) | instid1(VALU_DEP_1)
	v_xor_b32_e32 v2, s19, v38
	ds_load_b32 v89, v91 offset:32
	v_and_b32_e32 v3, v3, v37
	; wave barrier
	v_and_b32_e32 v2, v3, v2
	s_delay_alu instid0(VALU_DEP_1) | instskip(SKIP_1) | instid1(VALU_DEP_2)
	v_mbcnt_lo_u32_b32 v90, v2, 0
	v_cmp_ne_u32_e64 s19, 0, v2
	v_cmp_eq_u32_e64 s18, 0, v90
	s_delay_alu instid0(VALU_DEP_1) | instskip(NEXT) | instid1(SALU_CYCLE_1)
	s_and_b32 s19, s19, s18
	s_and_saveexec_b32 s18, s19
	s_cbranch_execz .LBB14_65
; %bb.64:
	s_waitcnt lgkmcnt(0)
	v_bcnt_u32_b32 v2, v2, v89
	ds_store_b32 v91, v2 offset:32
.LBB14_65:
	s_or_b32 exec_lo, exec_lo, s18
	; wave barrier
	s_waitcnt lgkmcnt(0)
	s_barrier
	buffer_gl0_inv
	ds_load_2addr_b32 v[40:41], v45 offset0:8 offset1:9
	ds_load_2addr_b32 v[38:39], v92 offset0:2 offset1:3
	;; [unrolled: 1-line block ×4, first 2 shown]
	ds_load_b32 v93, v92 offset:32
	v_bfe_i32 v96, v42, 4, 1
	s_mov_b32 s19, exec_lo
	s_waitcnt lgkmcnt(3)
	v_add3_u32 v94, v41, v40, v38
	s_waitcnt lgkmcnt(2)
	s_delay_alu instid0(VALU_DEP_1) | instskip(SKIP_1) | instid1(VALU_DEP_1)
	v_add3_u32 v94, v94, v39, v36
	s_waitcnt lgkmcnt(1)
	v_add3_u32 v94, v94, v37, v2
	s_waitcnt lgkmcnt(0)
	s_delay_alu instid0(VALU_DEP_1) | instskip(SKIP_1) | instid1(VALU_DEP_2)
	v_add3_u32 v93, v94, v3, v93
	v_and_b32_e32 v94, 15, v42
	v_mov_b32_dpp v95, v93 row_shr:1 row_mask:0xf bank_mask:0xf
	s_delay_alu instid0(VALU_DEP_2) | instskip(NEXT) | instid1(VALU_DEP_1)
	v_cmp_ne_u32_e64 s18, 0, v94
	v_cndmask_b32_e64 v95, 0, v95, s18
	v_cmp_lt_u32_e64 s18, 1, v94
	s_delay_alu instid0(VALU_DEP_2) | instskip(NEXT) | instid1(VALU_DEP_1)
	v_add_nc_u32_e32 v93, v95, v93
	v_mov_b32_dpp v95, v93 row_shr:2 row_mask:0xf bank_mask:0xf
	s_delay_alu instid0(VALU_DEP_1) | instskip(SKIP_1) | instid1(VALU_DEP_2)
	v_cndmask_b32_e64 v95, 0, v95, s18
	v_cmp_lt_u32_e64 s18, 3, v94
	v_add_nc_u32_e32 v93, v93, v95
	s_delay_alu instid0(VALU_DEP_1) | instskip(NEXT) | instid1(VALU_DEP_1)
	v_mov_b32_dpp v95, v93 row_shr:4 row_mask:0xf bank_mask:0xf
	v_cndmask_b32_e64 v95, 0, v95, s18
	v_cmp_lt_u32_e64 s18, 7, v94
	s_delay_alu instid0(VALU_DEP_2) | instskip(NEXT) | instid1(VALU_DEP_1)
	v_add_nc_u32_e32 v93, v93, v95
	v_mov_b32_dpp v95, v93 row_shr:8 row_mask:0xf bank_mask:0xf
	s_delay_alu instid0(VALU_DEP_1) | instskip(SKIP_1) | instid1(VALU_DEP_2)
	v_cndmask_b32_e64 v94, 0, v95, s18
	v_and_b32_e32 v95, 0x3e0, v1
	v_add_nc_u32_e32 v93, v93, v94
	s_delay_alu instid0(VALU_DEP_2)
	v_min_u32_e32 v95, 0xe0, v95
	ds_swizzle_b32 v94, v93 offset:swizzle(BROADCAST,32,15)
	v_or_b32_e32 v95, 31, v95
	s_waitcnt lgkmcnt(0)
	v_and_b32_e32 v96, v96, v94
	v_lshrrev_b32_e32 v94, 5, v1
	s_delay_alu instid0(VALU_DEP_2)
	v_add_nc_u32_e32 v93, v93, v96
	v_cmpx_eq_u32_e64 v95, v1
	s_cbranch_execz .LBB14_67
; %bb.66:
	s_delay_alu instid0(VALU_DEP_3)
	v_lshlrev_b32_e32 v95, 2, v94
	ds_store_b32 v95, v93
.LBB14_67:
	s_or_b32 exec_lo, exec_lo, s19
	s_delay_alu instid0(SALU_CYCLE_1)
	s_mov_b32 s19, exec_lo
	s_waitcnt lgkmcnt(0)
	s_barrier
	buffer_gl0_inv
	v_cmpx_gt_u32_e32 8, v1
	s_cbranch_execz .LBB14_69
; %bb.68:
	v_lshlrev_b32_e32 v95, 2, v1
	v_and_b32_e32 v97, 7, v42
	ds_load_b32 v96, v95
	v_cmp_ne_u32_e64 s18, 0, v97
	s_waitcnt lgkmcnt(0)
	v_mov_b32_dpp v98, v96 row_shr:1 row_mask:0xf bank_mask:0xf
	s_delay_alu instid0(VALU_DEP_1) | instskip(SKIP_1) | instid1(VALU_DEP_2)
	v_cndmask_b32_e64 v98, 0, v98, s18
	v_cmp_lt_u32_e64 s18, 1, v97
	v_add_nc_u32_e32 v96, v98, v96
	s_delay_alu instid0(VALU_DEP_1) | instskip(NEXT) | instid1(VALU_DEP_1)
	v_mov_b32_dpp v98, v96 row_shr:2 row_mask:0xf bank_mask:0xf
	v_cndmask_b32_e64 v98, 0, v98, s18
	v_cmp_lt_u32_e64 s18, 3, v97
	s_delay_alu instid0(VALU_DEP_2) | instskip(NEXT) | instid1(VALU_DEP_1)
	v_add_nc_u32_e32 v96, v96, v98
	v_mov_b32_dpp v98, v96 row_shr:4 row_mask:0xf bank_mask:0xf
	s_delay_alu instid0(VALU_DEP_1) | instskip(NEXT) | instid1(VALU_DEP_1)
	v_cndmask_b32_e64 v97, 0, v98, s18
	v_add_nc_u32_e32 v96, v96, v97
	ds_store_b32 v95, v96
.LBB14_69:
	s_or_b32 exec_lo, exec_lo, s19
	v_mov_b32_e32 v95, 0
	s_mov_b32 s19, exec_lo
	s_waitcnt lgkmcnt(0)
	s_barrier
	buffer_gl0_inv
	v_cmpx_lt_u32_e32 31, v1
	s_cbranch_execz .LBB14_71
; %bb.70:
	v_lshl_add_u32 v94, v94, 2, -4
	ds_load_b32 v95, v94
.LBB14_71:
	s_or_b32 exec_lo, exec_lo, s19
	v_add_nc_u32_e32 v94, -1, v42
	s_waitcnt lgkmcnt(0)
	v_add_nc_u32_e32 v93, v95, v93
	s_mov_b32 s19, 0
	s_mov_b32 s20, exec_lo
	v_cmp_gt_i32_e64 s18, 0, v94
	s_delay_alu instid0(VALU_DEP_1) | instskip(SKIP_1) | instid1(VALU_DEP_2)
	v_cndmask_b32_e64 v94, v94, v42, s18
	v_cmp_eq_u32_e64 s18, 0, v42
	v_lshlrev_b32_e32 v94, 2, v94
	ds_bpermute_b32 v93, v94, v93
	s_waitcnt lgkmcnt(0)
	v_cndmask_b32_e64 v93, v93, v95, s18
	v_cmp_ne_u32_e64 s18, 0, v1
	s_delay_alu instid0(VALU_DEP_1) | instskip(NEXT) | instid1(VALU_DEP_1)
	v_cndmask_b32_e64 v93, 0, v93, s18
	v_add_nc_u32_e32 v40, v93, v40
	s_delay_alu instid0(VALU_DEP_1) | instskip(NEXT) | instid1(VALU_DEP_1)
	v_add_nc_u32_e32 v41, v40, v41
	v_add_nc_u32_e32 v38, v41, v38
	s_delay_alu instid0(VALU_DEP_1) | instskip(NEXT) | instid1(VALU_DEP_1)
	v_add_nc_u32_e32 v39, v38, v39
	;; [unrolled: 3-line block ×3, first 2 shown]
	v_add_nc_u32_e32 v2, v37, v2
	s_delay_alu instid0(VALU_DEP_1)
	v_add_nc_u32_e32 v3, v2, v3
	ds_store_2addr_b32 v45, v93, v40 offset0:8 offset1:9
	ds_store_2addr_b32 v92, v41, v38 offset0:2 offset1:3
	;; [unrolled: 1-line block ×4, first 2 shown]
	ds_store_b32 v92, v3 offset:32
	v_mov_b32_e32 v2, 0x1000
	s_waitcnt lgkmcnt(0)
	s_barrier
	buffer_gl0_inv
	ds_load_b32 v37, v49 offset:32
	ds_load_b32 v38, v52 offset:32
	ds_load_b32 v39, v55 offset:32
	ds_load_b32 v40, v58 offset:32
	ds_load_b32 v41, v61 offset:32
	ds_load_b32 v49, v64 offset:32
	ds_load_b32 v52, v67 offset:32
	ds_load_b32 v55, v70 offset:32
	ds_load_b32 v58, v73 offset:32
	ds_load_b32 v61, v76 offset:32
	ds_load_b32 v64, v79 offset:32
	ds_load_b32 v67, v82 offset:32
	ds_load_b32 v70, v85 offset:32
	ds_load_b32 v73, v88 offset:32
	ds_load_b32 v76, v91 offset:32
	ds_load_b32 v36, v46 offset:32
	ds_load_b32 v3, v45 offset:32
	v_add_nc_u32_e32 v45, 1, v1
	s_delay_alu instid0(VALU_DEP_1)
	v_cmpx_ne_u32_e32 0x100, v45
	s_cbranch_execz .LBB14_73
; %bb.72:
	v_mul_u32_u24_e32 v2, 9, v45
	s_delay_alu instid0(VALU_DEP_1)
	v_lshlrev_b32_e32 v2, 2, v2
	ds_load_b32 v2, v2 offset:32
.LBB14_73:
	s_or_b32 exec_lo, exec_lo, s20
	s_waitcnt lgkmcnt(1)
	v_add_nc_u32_e32 v36, v36, v44
	v_add3_u32 v37, v48, v47, v37
	v_add3_u32 v38, v51, v50, v38
	;; [unrolled: 1-line block ×4, first 2 shown]
	v_lshlrev_b32_e32 v54, 3, v36
	v_lshlrev_b32_e32 v55, 3, v37
	v_add3_u32 v40, v57, v56, v40
	v_add3_u32 v41, v60, v59, v41
	;; [unrolled: 1-line block ×4, first 2 shown]
	s_waitcnt lgkmcnt(0)
	s_barrier
	buffer_gl0_inv
	ds_store_b64 v54, v[4:5] offset:2048
	ds_store_b64 v55, v[6:7] offset:2048
	v_lshlrev_b32_e32 v4, 3, v38
	v_lshlrev_b32_e32 v5, 3, v39
	v_add3_u32 v47, v72, v71, v58
	v_lshlrev_b32_e32 v6, 3, v40
	v_add3_u32 v48, v75, v74, v61
	v_lshlrev_b32_e32 v7, 3, v41
	v_add3_u32 v49, v78, v77, v64
	v_lshlrev_b32_e32 v54, 3, v44
	v_add3_u32 v50, v81, v80, v67
	ds_store_b64 v4, v[8:9] offset:2048
	ds_store_b64 v5, v[10:11] offset:2048
	;; [unrolled: 1-line block ×5, first 2 shown]
	v_lshlrev_b32_e32 v4, 3, v45
	v_add3_u32 v51, v84, v83, v70
	v_lshlrev_b32_e32 v5, 3, v46
	v_lshlrev_b32_e32 v6, 3, v47
	v_lshlrev_b32_e32 v7, 3, v48
	v_lshlrev_b32_e32 v8, 3, v49
	ds_store_b64 v4, v[28:29] offset:2048
	ds_store_b64 v5, v[32:33] offset:2048
	;; [unrolled: 1-line block ×5, first 2 shown]
	v_lshlrev_b32_e32 v6, 3, v50
	v_lshl_add_u32 v4, s15, 8, v1
	v_mov_b32_e32 v5, 0
	v_lshlrev_b32_e32 v7, 3, v51
	ds_store_b64 v6, v[18:19] offset:2048
	ds_store_b64 v7, v[14:15] offset:2048
	v_lshlrev_b64 v[6:7], 2, v[4:5]
	v_add3_u32 v52, v87, v86, v73
	v_sub_nc_u32_e32 v10, v2, v3
	v_mov_b32_e32 v2, 0
	v_add3_u32 v53, v90, v89, v76
	s_mov_b32 s20, s54
	v_add_co_u32 v6, s18, s52, v6
	v_lshlrev_b32_e32 v8, 3, v52
	v_add_co_ci_u32_e64 v7, s18, s53, v7, s18
	v_or_b32_e32 v4, 2.0, v10
	v_lshlrev_b32_e32 v9, 3, v53
	ds_store_b64 v8, v[12:13] offset:2048
	ds_store_b64 v9, v[34:35] offset:2048
	s_waitcnt lgkmcnt(0)
	s_barrier
	buffer_gl0_inv
	global_store_b32 v[6:7], v4, off
                                        ; implicit-def: $sgpr18
	s_branch .LBB14_75
	.p2align	6
.LBB14_74:                              ;   in Loop: Header=BB14_75 Depth=1
	s_or_b32 exec_lo, exec_lo, s21
	v_and_b32_e32 v8, 0x3fffffff, v11
	v_cmp_eq_u32_e64 s18, 0x80000000, v4
	s_delay_alu instid0(VALU_DEP_2) | instskip(NEXT) | instid1(VALU_DEP_2)
	v_add_nc_u32_e32 v2, v8, v2
	s_and_b32 s21, exec_lo, s18
	s_delay_alu instid0(SALU_CYCLE_1) | instskip(NEXT) | instid1(SALU_CYCLE_1)
	s_or_b32 s19, s21, s19
	s_and_not1_b32 exec_lo, exec_lo, s19
	s_cbranch_execz .LBB14_81
.LBB14_75:                              ; =>This Loop Header: Depth=1
                                        ;     Child Loop BB14_78 Depth 2
	s_or_b32 s18, s18, exec_lo
	s_cmp_eq_u32 s20, 0
	s_cbranch_scc1 .LBB14_80
; %bb.76:                               ;   in Loop: Header=BB14_75 Depth=1
	s_add_i32 s20, s20, -1
	s_mov_b32 s21, exec_lo
	v_lshl_add_u32 v4, s20, 8, v1
	s_delay_alu instid0(VALU_DEP_1) | instskip(NEXT) | instid1(VALU_DEP_1)
	v_lshlrev_b64 v[8:9], 2, v[4:5]
	v_add_co_u32 v8, s18, s52, v8
	s_delay_alu instid0(VALU_DEP_1) | instskip(SKIP_3) | instid1(VALU_DEP_1)
	v_add_co_ci_u32_e64 v9, s18, s53, v9, s18
	global_load_b32 v11, v[8:9], off glc
	s_waitcnt vmcnt(0)
	v_and_b32_e32 v4, -2.0, v11
	v_cmpx_eq_u32_e32 0, v4
	s_cbranch_execz .LBB14_74
; %bb.77:                               ;   in Loop: Header=BB14_75 Depth=1
	s_mov_b32 s22, 0
.LBB14_78:                              ;   Parent Loop BB14_75 Depth=1
                                        ; =>  This Inner Loop Header: Depth=2
	global_load_b32 v11, v[8:9], off glc
	s_waitcnt vmcnt(0)
	v_and_b32_e32 v4, -2.0, v11
	s_delay_alu instid0(VALU_DEP_1) | instskip(NEXT) | instid1(VALU_DEP_1)
	v_cmp_ne_u32_e64 s18, 0, v4
	s_or_b32 s22, s18, s22
	s_delay_alu instid0(SALU_CYCLE_1)
	s_and_not1_b32 exec_lo, exec_lo, s22
	s_cbranch_execnz .LBB14_78
; %bb.79:                               ;   in Loop: Header=BB14_75 Depth=1
	s_or_b32 exec_lo, exec_lo, s22
	s_branch .LBB14_74
.LBB14_80:                              ;   in Loop: Header=BB14_75 Depth=1
                                        ; implicit-def: $sgpr20
	s_and_b32 s21, exec_lo, s18
	s_delay_alu instid0(SALU_CYCLE_1) | instskip(NEXT) | instid1(SALU_CYCLE_1)
	s_or_b32 s19, s21, s19
	s_and_not1_b32 exec_lo, exec_lo, s19
	s_cbranch_execnz .LBB14_75
.LBB14_81:
	s_or_b32 exec_lo, exec_lo, s19
	v_add_nc_u32_e32 v4, v2, v10
	v_lshlrev_b32_e32 v8, 3, v1
	s_delay_alu instid0(VALU_DEP_2) | instskip(SKIP_3) | instid1(VALU_DEP_1)
	v_or_b32_e32 v4, 0x80000000, v4
	global_store_b32 v[6:7], v4, off
	global_load_b64 v[4:5], v8, s[44:45]
	v_sub_co_u32 v6, s18, v2, v3
	v_sub_co_ci_u32_e64 v7, null, 0, 0, s18
	v_mov_b32_e32 v2, 0
	s_waitcnt vmcnt(0)
	s_delay_alu instid0(VALU_DEP_3) | instskip(NEXT) | instid1(VALU_DEP_1)
	v_add_co_u32 v6, s18, v6, v4
	v_add_co_ci_u32_e64 v7, s18, v7, v5, s18
	v_cmp_gt_u32_e64 s18, s35, v1
	v_mov_b32_e32 v4, v2
	ds_store_b64 v8, v[6:7]
	s_waitcnt lgkmcnt(0)
	s_waitcnt_vscnt null, 0x0
	s_barrier
	buffer_gl0_inv
	s_and_saveexec_b32 s20, s18
	s_cbranch_execz .LBB14_83
; %bb.82:
	ds_load_b64 v[5:6], v8 offset:2048
	s_waitcnt lgkmcnt(0)
	v_lshrrev_b64 v[11:12], s48, v[5:6]
	v_xor_b32_e32 v6, 0x7fffffff, v6
	v_not_b32_e32 v5, v5
	s_delay_alu instid0(VALU_DEP_3) | instskip(NEXT) | instid1(VALU_DEP_1)
	v_and_b32_e32 v7, s55, v11
	v_lshlrev_b32_e32 v7, 3, v7
	ds_load_b64 v[11:12], v7
	s_waitcnt lgkmcnt(0)
	v_lshlrev_b64 v[11:12], 3, v[11:12]
	s_delay_alu instid0(VALU_DEP_1) | instskip(NEXT) | instid1(VALU_DEP_1)
	v_add_co_u32 v7, s19, s38, v11
	v_add_co_ci_u32_e64 v9, s19, s39, v12, s19
	s_delay_alu instid0(VALU_DEP_2) | instskip(NEXT) | instid1(VALU_DEP_1)
	v_add_co_u32 v11, s19, v7, v8
	v_add_co_ci_u32_e64 v12, s19, 0, v9, s19
	global_store_b64 v[11:12], v[5:6], off
.LBB14_83:
	s_or_b32 exec_lo, exec_lo, s20
	v_add_nc_u32_e32 v5, 0x100, v1
	s_delay_alu instid0(VALU_DEP_1) | instskip(NEXT) | instid1(VALU_DEP_1)
	v_cmp_gt_u32_e64 s19, s35, v5
	s_and_saveexec_b32 s21, s19
	s_cbranch_execz .LBB14_85
; %bb.84:
	v_lshlrev_b32_e32 v7, 3, v1
	ds_load_b64 v[5:6], v7 offset:4096
	s_waitcnt lgkmcnt(0)
	v_lshrrev_b64 v[11:12], s48, v[5:6]
	v_xor_b32_e32 v6, 0x7fffffff, v6
	v_not_b32_e32 v5, v5
	s_delay_alu instid0(VALU_DEP_3) | instskip(NEXT) | instid1(VALU_DEP_1)
	v_and_b32_e32 v9, s55, v11
	v_lshlrev_b32_e32 v9, 3, v9
	ds_load_b64 v[11:12], v9
	s_waitcnt lgkmcnt(0)
	v_lshlrev_b64 v[11:12], 3, v[11:12]
	s_delay_alu instid0(VALU_DEP_1) | instskip(NEXT) | instid1(VALU_DEP_1)
	v_add_co_u32 v9, s20, s38, v11
	v_add_co_ci_u32_e64 v12, s20, s39, v12, s20
	s_delay_alu instid0(VALU_DEP_2) | instskip(NEXT) | instid1(VALU_DEP_1)
	v_add_co_u32 v11, s20, v9, v7
	v_add_co_ci_u32_e64 v12, s20, 0, v12, s20
	global_store_b64 v[11:12], v[5:6], off offset:2048
.LBB14_85:
	s_or_b32 exec_lo, exec_lo, s21
	v_add_nc_u32_e32 v5, 0x200, v1
	s_delay_alu instid0(VALU_DEP_1) | instskip(NEXT) | instid1(VALU_DEP_1)
	v_cmp_gt_u32_e64 s20, s35, v5
	s_and_saveexec_b32 s22, s20
	s_cbranch_execz .LBB14_87
; %bb.86:
	v_lshlrev_b32_e32 v6, 3, v1
	v_lshlrev_b32_e32 v5, 3, v5
	ds_load_b64 v[6:7], v6 offset:6144
	s_waitcnt lgkmcnt(0)
	v_lshrrev_b64 v[11:12], s48, v[6:7]
	v_xor_b32_e32 v7, 0x7fffffff, v7
	v_not_b32_e32 v6, v6
	s_delay_alu instid0(VALU_DEP_3) | instskip(NEXT) | instid1(VALU_DEP_1)
	v_and_b32_e32 v9, s55, v11
	v_lshlrev_b32_e32 v9, 3, v9
	ds_load_b64 v[11:12], v9
	s_waitcnt lgkmcnt(0)
	v_lshlrev_b64 v[11:12], 3, v[11:12]
	s_delay_alu instid0(VALU_DEP_1) | instskip(NEXT) | instid1(VALU_DEP_1)
	v_add_co_u32 v9, s21, s38, v11
	v_add_co_ci_u32_e64 v12, s21, s39, v12, s21
	s_delay_alu instid0(VALU_DEP_2) | instskip(NEXT) | instid1(VALU_DEP_1)
	v_add_co_u32 v11, s21, v9, v5
	v_add_co_ci_u32_e64 v12, s21, 0, v12, s21
	global_store_b64 v[11:12], v[6:7], off
.LBB14_87:
	s_or_b32 exec_lo, exec_lo, s22
	v_add_nc_u32_e32 v5, 0x300, v1
	s_delay_alu instid0(VALU_DEP_1) | instskip(NEXT) | instid1(VALU_DEP_1)
	v_cmp_gt_u32_e64 s21, s35, v5
	s_and_saveexec_b32 s23, s21
	s_cbranch_execz .LBB14_89
; %bb.88:
	v_lshlrev_b32_e32 v6, 3, v1
	v_lshlrev_b32_e32 v5, 3, v5
	ds_load_b64 v[6:7], v6 offset:8192
	s_waitcnt lgkmcnt(0)
	v_lshrrev_b64 v[11:12], s48, v[6:7]
	v_xor_b32_e32 v7, 0x7fffffff, v7
	v_not_b32_e32 v6, v6
	s_delay_alu instid0(VALU_DEP_3) | instskip(NEXT) | instid1(VALU_DEP_1)
	v_and_b32_e32 v9, s55, v11
	v_lshlrev_b32_e32 v9, 3, v9
	ds_load_b64 v[11:12], v9
	s_waitcnt lgkmcnt(0)
	v_lshlrev_b64 v[11:12], 3, v[11:12]
	s_delay_alu instid0(VALU_DEP_1) | instskip(NEXT) | instid1(VALU_DEP_1)
	v_add_co_u32 v9, s22, s38, v11
	v_add_co_ci_u32_e64 v12, s22, s39, v12, s22
	s_delay_alu instid0(VALU_DEP_2) | instskip(NEXT) | instid1(VALU_DEP_1)
	v_add_co_u32 v11, s22, v9, v5
	v_add_co_ci_u32_e64 v12, s22, 0, v12, s22
	global_store_b64 v[11:12], v[6:7], off
.LBB14_89:
	s_or_b32 exec_lo, exec_lo, s23
	v_or_b32_e32 v5, 0x400, v1
	s_delay_alu instid0(VALU_DEP_1) | instskip(NEXT) | instid1(VALU_DEP_1)
	v_cmp_gt_u32_e64 s22, s35, v5
	s_and_saveexec_b32 s24, s22
	s_cbranch_execz .LBB14_91
; %bb.90:
	v_lshlrev_b32_e32 v6, 3, v1
	v_lshlrev_b32_e32 v5, 3, v5
	ds_load_b64 v[6:7], v6 offset:10240
	s_waitcnt lgkmcnt(0)
	v_lshrrev_b64 v[11:12], s48, v[6:7]
	v_xor_b32_e32 v7, 0x7fffffff, v7
	v_not_b32_e32 v6, v6
	s_delay_alu instid0(VALU_DEP_3) | instskip(NEXT) | instid1(VALU_DEP_1)
	v_and_b32_e32 v9, s55, v11
	v_lshlrev_b32_e32 v9, 3, v9
	ds_load_b64 v[11:12], v9
	s_waitcnt lgkmcnt(0)
	v_lshlrev_b64 v[11:12], 3, v[11:12]
	s_delay_alu instid0(VALU_DEP_1) | instskip(NEXT) | instid1(VALU_DEP_1)
	v_add_co_u32 v9, s23, s38, v11
	v_add_co_ci_u32_e64 v12, s23, s39, v12, s23
	s_delay_alu instid0(VALU_DEP_2) | instskip(NEXT) | instid1(VALU_DEP_1)
	v_add_co_u32 v11, s23, v9, v5
	v_add_co_ci_u32_e64 v12, s23, 0, v12, s23
	global_store_b64 v[11:12], v[6:7], off
.LBB14_91:
	s_or_b32 exec_lo, exec_lo, s24
	v_add_nc_u32_e32 v5, 0x500, v1
	s_delay_alu instid0(VALU_DEP_1) | instskip(NEXT) | instid1(VALU_DEP_1)
	v_cmp_gt_u32_e64 s23, s35, v5
	s_and_saveexec_b32 s25, s23
	s_cbranch_execz .LBB14_93
; %bb.92:
	v_lshlrev_b32_e32 v6, 3, v1
	v_lshlrev_b32_e32 v5, 3, v5
	ds_load_b64 v[6:7], v6 offset:12288
	s_waitcnt lgkmcnt(0)
	v_lshrrev_b64 v[11:12], s48, v[6:7]
	v_xor_b32_e32 v7, 0x7fffffff, v7
	v_not_b32_e32 v6, v6
	s_delay_alu instid0(VALU_DEP_3) | instskip(NEXT) | instid1(VALU_DEP_1)
	v_and_b32_e32 v9, s55, v11
	v_lshlrev_b32_e32 v9, 3, v9
	ds_load_b64 v[11:12], v9
	s_waitcnt lgkmcnt(0)
	v_lshlrev_b64 v[11:12], 3, v[11:12]
	s_delay_alu instid0(VALU_DEP_1) | instskip(NEXT) | instid1(VALU_DEP_1)
	v_add_co_u32 v9, s24, s38, v11
	v_add_co_ci_u32_e64 v12, s24, s39, v12, s24
	s_delay_alu instid0(VALU_DEP_2) | instskip(NEXT) | instid1(VALU_DEP_1)
	v_add_co_u32 v11, s24, v9, v5
	v_add_co_ci_u32_e64 v12, s24, 0, v12, s24
	global_store_b64 v[11:12], v[6:7], off
.LBB14_93:
	s_or_b32 exec_lo, exec_lo, s25
	v_add_nc_u32_e32 v5, 0x600, v1
	;; [unrolled: 28-line block ×3, first 2 shown]
	s_delay_alu instid0(VALU_DEP_1) | instskip(NEXT) | instid1(VALU_DEP_1)
	v_cmp_gt_u32_e64 s25, s35, v5
	s_and_saveexec_b32 s27, s25
	s_cbranch_execz .LBB14_97
; %bb.96:
	v_lshlrev_b32_e32 v6, 3, v1
	v_lshlrev_b32_e32 v5, 3, v5
	ds_load_b64 v[6:7], v6 offset:16384
	s_waitcnt lgkmcnt(0)
	v_lshrrev_b64 v[11:12], s48, v[6:7]
	v_xor_b32_e32 v7, 0x7fffffff, v7
	v_not_b32_e32 v6, v6
	s_delay_alu instid0(VALU_DEP_3) | instskip(NEXT) | instid1(VALU_DEP_1)
	v_and_b32_e32 v9, s55, v11
	v_lshlrev_b32_e32 v9, 3, v9
	ds_load_b64 v[11:12], v9
	s_waitcnt lgkmcnt(0)
	v_lshlrev_b64 v[11:12], 3, v[11:12]
	s_delay_alu instid0(VALU_DEP_1) | instskip(NEXT) | instid1(VALU_DEP_1)
	v_add_co_u32 v9, s26, s38, v11
	v_add_co_ci_u32_e64 v12, s26, s39, v12, s26
	s_delay_alu instid0(VALU_DEP_2) | instskip(NEXT) | instid1(VALU_DEP_1)
	v_add_co_u32 v11, s26, v9, v5
	v_add_co_ci_u32_e64 v12, s26, 0, v12, s26
	global_store_b64 v[11:12], v[6:7], off
.LBB14_97:
	s_or_b32 exec_lo, exec_lo, s27
	v_or_b32_e32 v5, 0x800, v1
	s_delay_alu instid0(VALU_DEP_1) | instskip(NEXT) | instid1(VALU_DEP_1)
	v_cmp_gt_u32_e64 s26, s35, v5
	s_and_saveexec_b32 s28, s26
	s_cbranch_execz .LBB14_99
; %bb.98:
	v_lshlrev_b32_e32 v6, 3, v1
	v_lshlrev_b32_e32 v5, 3, v5
	ds_load_b64 v[6:7], v6 offset:18432
	s_waitcnt lgkmcnt(0)
	v_lshrrev_b64 v[11:12], s48, v[6:7]
	v_xor_b32_e32 v7, 0x7fffffff, v7
	v_not_b32_e32 v6, v6
	s_delay_alu instid0(VALU_DEP_3) | instskip(NEXT) | instid1(VALU_DEP_1)
	v_and_b32_e32 v9, s55, v11
	v_lshlrev_b32_e32 v9, 3, v9
	ds_load_b64 v[11:12], v9
	s_waitcnt lgkmcnt(0)
	v_lshlrev_b64 v[11:12], 3, v[11:12]
	s_delay_alu instid0(VALU_DEP_1) | instskip(NEXT) | instid1(VALU_DEP_1)
	v_add_co_u32 v9, s27, s38, v11
	v_add_co_ci_u32_e64 v12, s27, s39, v12, s27
	s_delay_alu instid0(VALU_DEP_2) | instskip(NEXT) | instid1(VALU_DEP_1)
	v_add_co_u32 v11, s27, v9, v5
	v_add_co_ci_u32_e64 v12, s27, 0, v12, s27
	global_store_b64 v[11:12], v[6:7], off
.LBB14_99:
	s_or_b32 exec_lo, exec_lo, s28
	v_add_nc_u32_e32 v5, 0x900, v1
	s_delay_alu instid0(VALU_DEP_1) | instskip(NEXT) | instid1(VALU_DEP_1)
	v_cmp_gt_u32_e64 s27, s35, v5
	s_and_saveexec_b32 s29, s27
	s_cbranch_execz .LBB14_101
; %bb.100:
	v_lshlrev_b32_e32 v6, 3, v1
	v_lshlrev_b32_e32 v5, 3, v5
	ds_load_b64 v[6:7], v6 offset:20480
	s_waitcnt lgkmcnt(0)
	v_lshrrev_b64 v[11:12], s48, v[6:7]
	v_xor_b32_e32 v7, 0x7fffffff, v7
	v_not_b32_e32 v6, v6
	s_delay_alu instid0(VALU_DEP_3) | instskip(NEXT) | instid1(VALU_DEP_1)
	v_and_b32_e32 v9, s55, v11
	v_lshlrev_b32_e32 v9, 3, v9
	ds_load_b64 v[11:12], v9
	s_waitcnt lgkmcnt(0)
	v_lshlrev_b64 v[11:12], 3, v[11:12]
	s_delay_alu instid0(VALU_DEP_1) | instskip(NEXT) | instid1(VALU_DEP_1)
	v_add_co_u32 v9, s28, s38, v11
	v_add_co_ci_u32_e64 v12, s28, s39, v12, s28
	s_delay_alu instid0(VALU_DEP_2) | instskip(NEXT) | instid1(VALU_DEP_1)
	v_add_co_u32 v11, s28, v9, v5
	v_add_co_ci_u32_e64 v12, s28, 0, v12, s28
	global_store_b64 v[11:12], v[6:7], off
.LBB14_101:
	s_or_b32 exec_lo, exec_lo, s29
	v_add_nc_u32_e32 v5, 0xa00, v1
	s_delay_alu instid0(VALU_DEP_1) | instskip(NEXT) | instid1(VALU_DEP_1)
	v_cmp_gt_u32_e64 s28, s35, v5
	s_and_saveexec_b32 s30, s28
	s_cbranch_execz .LBB14_103
; %bb.102:
	v_lshlrev_b32_e32 v6, 3, v1
	v_lshlrev_b32_e32 v5, 3, v5
	ds_load_b64 v[6:7], v6 offset:22528
	s_waitcnt lgkmcnt(0)
	v_lshrrev_b64 v[11:12], s48, v[6:7]
	v_xor_b32_e32 v7, 0x7fffffff, v7
	v_not_b32_e32 v6, v6
	s_delay_alu instid0(VALU_DEP_3) | instskip(NEXT) | instid1(VALU_DEP_1)
	v_and_b32_e32 v9, s55, v11
	v_lshlrev_b32_e32 v9, 3, v9
	ds_load_b64 v[11:12], v9
	s_waitcnt lgkmcnt(0)
	v_lshlrev_b64 v[11:12], 3, v[11:12]
	s_delay_alu instid0(VALU_DEP_1) | instskip(NEXT) | instid1(VALU_DEP_1)
	v_add_co_u32 v9, s29, s38, v11
	v_add_co_ci_u32_e64 v12, s29, s39, v12, s29
	s_delay_alu instid0(VALU_DEP_2) | instskip(NEXT) | instid1(VALU_DEP_1)
	v_add_co_u32 v11, s29, v9, v5
	v_add_co_ci_u32_e64 v12, s29, 0, v12, s29
	global_store_b64 v[11:12], v[6:7], off
.LBB14_103:
	s_or_b32 exec_lo, exec_lo, s30
	v_add_nc_u32_e32 v5, 0xb00, v1
	s_delay_alu instid0(VALU_DEP_1) | instskip(NEXT) | instid1(VALU_DEP_1)
	v_cmp_gt_u32_e64 s29, s35, v5
	s_and_saveexec_b32 s31, s29
	s_cbranch_execz .LBB14_105
; %bb.104:
	v_lshlrev_b32_e32 v6, 3, v1
	v_lshlrev_b32_e32 v5, 3, v5
	ds_load_b64 v[6:7], v6 offset:24576
	s_waitcnt lgkmcnt(0)
	v_lshrrev_b64 v[11:12], s48, v[6:7]
	v_xor_b32_e32 v7, 0x7fffffff, v7
	v_not_b32_e32 v6, v6
	s_delay_alu instid0(VALU_DEP_3) | instskip(NEXT) | instid1(VALU_DEP_1)
	v_and_b32_e32 v9, s55, v11
	v_lshlrev_b32_e32 v9, 3, v9
	ds_load_b64 v[11:12], v9
	s_waitcnt lgkmcnt(0)
	v_lshlrev_b64 v[11:12], 3, v[11:12]
	s_delay_alu instid0(VALU_DEP_1) | instskip(NEXT) | instid1(VALU_DEP_1)
	v_add_co_u32 v9, s30, s38, v11
	v_add_co_ci_u32_e64 v12, s30, s39, v12, s30
	s_delay_alu instid0(VALU_DEP_2) | instskip(NEXT) | instid1(VALU_DEP_1)
	v_add_co_u32 v11, s30, v9, v5
	v_add_co_ci_u32_e64 v12, s30, 0, v12, s30
	global_store_b64 v[11:12], v[6:7], off
.LBB14_105:
	s_or_b32 exec_lo, exec_lo, s31
	v_or_b32_e32 v5, 0xc00, v1
	s_delay_alu instid0(VALU_DEP_1) | instskip(NEXT) | instid1(VALU_DEP_1)
	v_cmp_gt_u32_e64 s30, s35, v5
	s_and_saveexec_b32 s33, s30
	s_cbranch_execz .LBB14_107
; %bb.106:
	v_lshlrev_b32_e32 v6, 3, v1
	v_lshlrev_b32_e32 v5, 3, v5
	ds_load_b64 v[6:7], v6 offset:26624
	s_waitcnt lgkmcnt(0)
	v_lshrrev_b64 v[11:12], s48, v[6:7]
	v_xor_b32_e32 v7, 0x7fffffff, v7
	v_not_b32_e32 v6, v6
	s_delay_alu instid0(VALU_DEP_3) | instskip(NEXT) | instid1(VALU_DEP_1)
	v_and_b32_e32 v9, s55, v11
	v_lshlrev_b32_e32 v9, 3, v9
	ds_load_b64 v[11:12], v9
	s_waitcnt lgkmcnt(0)
	v_lshlrev_b64 v[11:12], 3, v[11:12]
	s_delay_alu instid0(VALU_DEP_1) | instskip(NEXT) | instid1(VALU_DEP_1)
	v_add_co_u32 v9, s31, s38, v11
	v_add_co_ci_u32_e64 v12, s31, s39, v12, s31
	s_delay_alu instid0(VALU_DEP_2) | instskip(NEXT) | instid1(VALU_DEP_1)
	v_add_co_u32 v11, s31, v9, v5
	v_add_co_ci_u32_e64 v12, s31, 0, v12, s31
	global_store_b64 v[11:12], v[6:7], off
.LBB14_107:
	s_or_b32 exec_lo, exec_lo, s33
	v_add_nc_u32_e32 v5, 0xd00, v1
	s_delay_alu instid0(VALU_DEP_1) | instskip(NEXT) | instid1(VALU_DEP_1)
	v_cmp_gt_u32_e64 s31, s35, v5
	s_and_saveexec_b32 s34, s31
	s_cbranch_execz .LBB14_109
; %bb.108:
	v_lshlrev_b32_e32 v6, 3, v1
	v_lshlrev_b32_e32 v5, 3, v5
	ds_load_b64 v[6:7], v6 offset:28672
	s_waitcnt lgkmcnt(0)
	v_lshrrev_b64 v[11:12], s48, v[6:7]
	v_xor_b32_e32 v7, 0x7fffffff, v7
	v_not_b32_e32 v6, v6
	s_delay_alu instid0(VALU_DEP_3) | instskip(NEXT) | instid1(VALU_DEP_1)
	v_and_b32_e32 v9, s55, v11
	v_lshlrev_b32_e32 v9, 3, v9
	ds_load_b64 v[11:12], v9
	s_waitcnt lgkmcnt(0)
	v_lshlrev_b64 v[11:12], 3, v[11:12]
	s_delay_alu instid0(VALU_DEP_1) | instskip(NEXT) | instid1(VALU_DEP_1)
	v_add_co_u32 v9, s33, s38, v11
	v_add_co_ci_u32_e64 v12, s33, s39, v12, s33
	s_delay_alu instid0(VALU_DEP_2) | instskip(NEXT) | instid1(VALU_DEP_1)
	v_add_co_u32 v11, s33, v9, v5
	v_add_co_ci_u32_e64 v12, s33, 0, v12, s33
	global_store_b64 v[11:12], v[6:7], off
.LBB14_109:
	s_or_b32 exec_lo, exec_lo, s34
	v_add_nc_u32_e32 v5, 0xe00, v1
	;; [unrolled: 28-line block ×3, first 2 shown]
	s_delay_alu instid0(VALU_DEP_1) | instskip(NEXT) | instid1(VALU_DEP_1)
	v_cmp_gt_u32_e64 s34, s35, v5
	s_and_saveexec_b32 s56, s34
	s_cbranch_execz .LBB14_113
; %bb.112:
	v_lshlrev_b32_e32 v6, 3, v1
	v_lshlrev_b32_e32 v5, 3, v5
	ds_load_b64 v[6:7], v6 offset:32768
	s_waitcnt lgkmcnt(0)
	v_lshrrev_b64 v[11:12], s48, v[6:7]
	v_xor_b32_e32 v7, 0x7fffffff, v7
	v_not_b32_e32 v6, v6
	s_delay_alu instid0(VALU_DEP_3) | instskip(NEXT) | instid1(VALU_DEP_1)
	v_and_b32_e32 v9, s55, v11
	v_lshlrev_b32_e32 v9, 3, v9
	ds_load_b64 v[11:12], v9
	s_waitcnt lgkmcnt(0)
	v_lshlrev_b64 v[11:12], 3, v[11:12]
	s_delay_alu instid0(VALU_DEP_1) | instskip(NEXT) | instid1(VALU_DEP_1)
	v_add_co_u32 v9, s35, s38, v11
	v_add_co_ci_u32_e64 v12, s35, s39, v12, s35
	s_delay_alu instid0(VALU_DEP_2) | instskip(NEXT) | instid1(VALU_DEP_1)
	v_add_co_u32 v11, s35, v9, v5
	v_add_co_ci_u32_e64 v12, s35, 0, v12, s35
	global_store_b64 v[11:12], v[6:7], off
.LBB14_113:
	s_or_b32 exec_lo, exec_lo, s56
	s_add_u32 s35, s40, s50
	s_addc_u32 s50, s41, 0
	v_add_co_u32 v5, s35, s35, v42
	s_delay_alu instid0(VALU_DEP_1) | instskip(NEXT) | instid1(VALU_DEP_2)
	v_add_co_ci_u32_e64 v6, null, s50, 0, s35
                                        ; implicit-def: $vgpr7
	v_add_co_u32 v5, s35, v5, v43
	s_delay_alu instid0(VALU_DEP_1) | instskip(SKIP_1) | instid1(SALU_CYCLE_1)
	v_add_co_ci_u32_e64 v6, s35, 0, v6, s35
	s_and_saveexec_b32 s35, vcc_lo
	s_xor_b32 s35, exec_lo, s35
	s_cbranch_execnz .LBB14_217
; %bb.114:
	s_or_b32 exec_lo, exec_lo, s35
                                        ; implicit-def: $vgpr9
	s_and_saveexec_b32 s35, s2
	s_cbranch_execnz .LBB14_218
.LBB14_115:
	s_or_b32 exec_lo, exec_lo, s35
                                        ; implicit-def: $vgpr11
	s_and_saveexec_b32 s2, s3
	s_cbranch_execnz .LBB14_219
.LBB14_116:
	s_or_b32 exec_lo, exec_lo, s2
                                        ; implicit-def: $vgpr12
	s_and_saveexec_b32 s2, s4
	s_cbranch_execnz .LBB14_220
.LBB14_117:
	s_or_b32 exec_lo, exec_lo, s2
                                        ; implicit-def: $vgpr13
	s_and_saveexec_b32 s2, s5
	s_cbranch_execnz .LBB14_221
.LBB14_118:
	s_or_b32 exec_lo, exec_lo, s2
                                        ; implicit-def: $vgpr14
	s_and_saveexec_b32 s2, s6
	s_cbranch_execnz .LBB14_222
.LBB14_119:
	s_or_b32 exec_lo, exec_lo, s2
                                        ; implicit-def: $vgpr15
	s_and_saveexec_b32 s2, s7
	s_cbranch_execnz .LBB14_223
.LBB14_120:
	s_or_b32 exec_lo, exec_lo, s2
                                        ; implicit-def: $vgpr16
	s_and_saveexec_b32 s2, s8
	s_cbranch_execnz .LBB14_224
.LBB14_121:
	s_or_b32 exec_lo, exec_lo, s2
                                        ; implicit-def: $vgpr17
	s_and_saveexec_b32 s2, s9
	s_cbranch_execnz .LBB14_225
.LBB14_122:
	s_or_b32 exec_lo, exec_lo, s2
                                        ; implicit-def: $vgpr18
	s_and_saveexec_b32 s2, s10
	s_cbranch_execnz .LBB14_226
.LBB14_123:
	s_or_b32 exec_lo, exec_lo, s2
                                        ; implicit-def: $vgpr19
	s_and_saveexec_b32 s2, s11
	s_cbranch_execnz .LBB14_227
.LBB14_124:
	s_or_b32 exec_lo, exec_lo, s2
                                        ; implicit-def: $vgpr22
	s_and_saveexec_b32 s2, s12
	s_cbranch_execnz .LBB14_228
.LBB14_125:
	s_or_b32 exec_lo, exec_lo, s2
                                        ; implicit-def: $vgpr25
	s_and_saveexec_b32 s2, s13
	s_cbranch_execnz .LBB14_229
.LBB14_126:
	s_or_b32 exec_lo, exec_lo, s2
                                        ; implicit-def: $vgpr29
	s_and_saveexec_b32 s2, s14
	s_cbranch_execnz .LBB14_230
.LBB14_127:
	s_or_b32 exec_lo, exec_lo, s2
                                        ; implicit-def: $vgpr33
	s_and_saveexec_b32 s2, s16
	s_cbranch_execnz .LBB14_231
.LBB14_128:
	s_or_b32 exec_lo, exec_lo, s2
                                        ; implicit-def: $vgpr54
	s_and_saveexec_b32 s2, s17
	s_cbranch_execnz .LBB14_232
.LBB14_129:
	s_or_b32 exec_lo, exec_lo, s2
                                        ; implicit-def: $vgpr55
	s_and_saveexec_b32 s2, s18
	s_cbranch_execnz .LBB14_233
.LBB14_130:
	s_or_b32 exec_lo, exec_lo, s2
                                        ; implicit-def: $vgpr43
	s_and_saveexec_b32 s2, s19
	s_cbranch_execnz .LBB14_234
.LBB14_131:
	s_or_b32 exec_lo, exec_lo, s2
                                        ; implicit-def: $vgpr35
	s_and_saveexec_b32 s2, s20
	s_cbranch_execnz .LBB14_235
.LBB14_132:
	s_or_b32 exec_lo, exec_lo, s2
                                        ; implicit-def: $vgpr34
	s_and_saveexec_b32 s2, s21
	s_cbranch_execnz .LBB14_236
.LBB14_133:
	s_or_b32 exec_lo, exec_lo, s2
                                        ; implicit-def: $vgpr32
	s_and_saveexec_b32 s2, s22
	s_cbranch_execnz .LBB14_237
.LBB14_134:
	s_or_b32 exec_lo, exec_lo, s2
                                        ; implicit-def: $vgpr31
	s_and_saveexec_b32 s2, s23
	s_cbranch_execnz .LBB14_238
.LBB14_135:
	s_or_b32 exec_lo, exec_lo, s2
                                        ; implicit-def: $vgpr30
	s_and_saveexec_b32 s2, s24
	s_cbranch_execnz .LBB14_239
.LBB14_136:
	s_or_b32 exec_lo, exec_lo, s2
                                        ; implicit-def: $vgpr28
	s_and_saveexec_b32 s2, s25
	s_cbranch_execnz .LBB14_240
.LBB14_137:
	s_or_b32 exec_lo, exec_lo, s2
                                        ; implicit-def: $vgpr27
	s_and_saveexec_b32 s2, s26
	s_cbranch_execnz .LBB14_241
.LBB14_138:
	s_or_b32 exec_lo, exec_lo, s2
                                        ; implicit-def: $vgpr26
	s_and_saveexec_b32 s2, s27
	s_cbranch_execnz .LBB14_242
.LBB14_139:
	s_or_b32 exec_lo, exec_lo, s2
                                        ; implicit-def: $vgpr24
	s_and_saveexec_b32 s2, s28
	s_cbranch_execnz .LBB14_243
.LBB14_140:
	s_or_b32 exec_lo, exec_lo, s2
                                        ; implicit-def: $vgpr23
	s_and_saveexec_b32 s2, s29
	s_cbranch_execnz .LBB14_244
.LBB14_141:
	s_or_b32 exec_lo, exec_lo, s2
                                        ; implicit-def: $vgpr21
	s_and_saveexec_b32 s2, s30
	s_cbranch_execnz .LBB14_245
.LBB14_142:
	s_or_b32 exec_lo, exec_lo, s2
                                        ; implicit-def: $vgpr20
	s_and_saveexec_b32 s2, s31
	s_cbranch_execnz .LBB14_246
.LBB14_143:
	s_or_b32 exec_lo, exec_lo, s2
                                        ; implicit-def: $vgpr6
	s_and_saveexec_b32 s2, s33
	s_cbranch_execnz .LBB14_247
.LBB14_144:
	s_or_b32 exec_lo, exec_lo, s2
                                        ; implicit-def: $vgpr5
	s_and_saveexec_b32 s2, s34
	s_cbranch_execz .LBB14_146
.LBB14_145:
	v_lshlrev_b32_e32 v5, 3, v1
	ds_load_b64 v[56:57], v5 offset:32768
	s_waitcnt lgkmcnt(0)
	v_lshrrev_b64 v[56:57], s48, v[56:57]
	s_delay_alu instid0(VALU_DEP_1)
	v_and_b32_e32 v5, s55, v56
.LBB14_146:
	s_or_b32 exec_lo, exec_lo, s2
	s_waitcnt vmcnt(0)
	s_waitcnt_vscnt null, 0x0
	s_barrier
	buffer_gl0_inv
	ds_store_b8 v36, v7 offset:2048
	ds_store_b8 v37, v9 offset:2048
	;; [unrolled: 1-line block ×16, first 2 shown]
	s_waitcnt lgkmcnt(0)
	s_barrier
	buffer_gl0_inv
	s_and_saveexec_b32 s2, s18
	s_cbranch_execnz .LBB14_248
; %bb.147:
	s_or_b32 exec_lo, exec_lo, s2
	s_and_saveexec_b32 s2, s19
	s_cbranch_execnz .LBB14_249
.LBB14_148:
	s_or_b32 exec_lo, exec_lo, s2
	s_and_saveexec_b32 s2, s20
	s_cbranch_execnz .LBB14_250
.LBB14_149:
	s_or_b32 exec_lo, exec_lo, s2
	s_and_saveexec_b32 s2, s21
	s_cbranch_execnz .LBB14_251
.LBB14_150:
	s_or_b32 exec_lo, exec_lo, s2
	s_and_saveexec_b32 s2, s22
	s_cbranch_execnz .LBB14_252
.LBB14_151:
	s_or_b32 exec_lo, exec_lo, s2
	s_and_saveexec_b32 s2, s23
	s_cbranch_execnz .LBB14_253
.LBB14_152:
	s_or_b32 exec_lo, exec_lo, s2
	s_and_saveexec_b32 s2, s24
	s_cbranch_execnz .LBB14_254
.LBB14_153:
	s_or_b32 exec_lo, exec_lo, s2
	s_and_saveexec_b32 s2, s25
	s_cbranch_execnz .LBB14_255
.LBB14_154:
	s_or_b32 exec_lo, exec_lo, s2
	s_and_saveexec_b32 s2, s26
	s_cbranch_execnz .LBB14_256
.LBB14_155:
	s_or_b32 exec_lo, exec_lo, s2
	s_and_saveexec_b32 s2, s27
	s_cbranch_execnz .LBB14_257
.LBB14_156:
	s_or_b32 exec_lo, exec_lo, s2
	s_and_saveexec_b32 s2, s28
	s_cbranch_execnz .LBB14_258
.LBB14_157:
	s_or_b32 exec_lo, exec_lo, s2
	s_and_saveexec_b32 s2, s29
	s_cbranch_execnz .LBB14_259
.LBB14_158:
	s_or_b32 exec_lo, exec_lo, s2
	s_and_saveexec_b32 s2, s30
	s_cbranch_execnz .LBB14_260
.LBB14_159:
	s_or_b32 exec_lo, exec_lo, s2
	s_and_saveexec_b32 s2, s31
	s_cbranch_execnz .LBB14_261
.LBB14_160:
	s_or_b32 exec_lo, exec_lo, s2
	s_and_saveexec_b32 s2, s33
	s_cbranch_execnz .LBB14_262
.LBB14_161:
	s_or_b32 exec_lo, exec_lo, s2
	s_and_saveexec_b32 s2, s34
	s_cbranch_execz .LBB14_163
.LBB14_162:
	v_lshlrev_b32_e32 v5, 3, v5
	ds_load_b64 v[5:6], v5
	ds_load_u8 v7, v1 offset:5888
	s_waitcnt lgkmcnt(1)
	v_add_co_u32 v5, vcc_lo, s42, v5
	v_add_co_ci_u32_e32 v6, vcc_lo, s43, v6, vcc_lo
	s_delay_alu instid0(VALU_DEP_2) | instskip(NEXT) | instid1(VALU_DEP_2)
	v_add_co_u32 v5, vcc_lo, v5, v1
	v_add_co_ci_u32_e32 v6, vcc_lo, 0, v6, vcc_lo
	s_waitcnt lgkmcnt(0)
	global_store_b8 v[5:6], v7, off offset:3840
.LBB14_163:
	s_or_b32 exec_lo, exec_lo, s2
	s_add_i32 s51, s51, -1
	s_delay_alu instid0(SALU_CYCLE_1)
	s_cmp_eq_u32 s15, s51
	s_cselect_b32 s2, -1, 0
	s_branch .LBB14_214
.LBB14_164:
	s_mov_b32 s2, 0
                                        ; implicit-def: $vgpr8
                                        ; implicit-def: $vgpr3_vgpr4
                                        ; implicit-def: $vgpr10
	s_cbranch_execz .LBB14_214
; %bb.165:
	v_dual_mov_b32 v37, 0 :: v_dual_lshlrev_b32 v2, 4, v1
	s_lshl_b32 s2, s15, 12
	s_mov_b32 s3, 0
	s_delay_alu instid0(SALU_CYCLE_1) | instskip(NEXT) | instid1(VALU_DEP_1)
	s_lshl_b64 s[4:5], s[2:3], 3
	v_and_b32_e32 v43, 0xe00, v2
	v_lshlrev_b32_e32 v2, 3, v42
	s_add_u32 s3, s36, s4
	s_addc_u32 s4, s37, s5
	s_delay_alu instid0(VALU_DEP_2) | instskip(NEXT) | instid1(VALU_DEP_2)
	v_lshlrev_b32_e32 v3, 3, v43
	v_add_co_u32 v2, s3, s3, v2
	s_delay_alu instid0(VALU_DEP_1) | instskip(NEXT) | instid1(VALU_DEP_2)
	v_add_co_ci_u32_e64 v4, null, s4, 0, s3
	v_add_co_u32 v2, vcc_lo, v2, v3
	s_delay_alu instid0(VALU_DEP_2)
	v_add_co_ci_u32_e32 v3, vcc_lo, 0, v4, vcc_lo
	global_load_b64 v[4:5], v[2:3], off
	s_clause 0x1
	s_load_b32 s4, s[0:1], 0x5c
	s_load_b32 s3, s[0:1], 0x50
	s_add_u32 s0, s0, 0x50
	s_addc_u32 s1, s1, 0
	s_waitcnt lgkmcnt(0)
	s_lshr_b32 s4, s4, 16
	s_cmp_lt_u32 s15, s3
	s_cselect_b32 s5, 12, 18
	s_delay_alu instid0(SALU_CYCLE_1)
	s_add_u32 s0, s0, s5
	s_addc_u32 s1, s1, 0
	global_load_u16 v38, v37, s[0:1]
	s_clause 0xe
	global_load_b64 v[6:7], v[2:3], off offset:256
	global_load_b64 v[8:9], v[2:3], off offset:512
	;; [unrolled: 1-line block ×15, first 2 shown]
	s_lshl_b32 s0, -1, s49
	s_delay_alu instid0(SALU_CYCLE_1) | instskip(SKIP_3) | instid1(VALU_DEP_1)
	s_not_b32 s1, s0
	s_waitcnt vmcnt(16)
	v_xor_b32_e32 v5, 0x7fffffff, v5
	v_not_b32_e32 v4, v4
	v_lshrrev_b64 v[34:35], s48, v[4:5]
	s_delay_alu instid0(VALU_DEP_1) | instskip(SKIP_2) | instid1(VALU_DEP_3)
	v_and_b32_e32 v39, s1, v34
	v_bfe_u32 v34, v0, 10, 10
	v_bfe_u32 v0, v0, 20, 10
	v_and_b32_e32 v35, 1, v39
	v_lshlrev_b32_e32 v36, 30, v39
	v_lshlrev_b32_e32 v40, 29, v39
	;; [unrolled: 1-line block ×4, first 2 shown]
	v_add_co_u32 v35, s0, v35, -1
	s_delay_alu instid0(VALU_DEP_1)
	v_cndmask_b32_e64 v44, 0, 1, s0
	v_not_b32_e32 v48, v36
	v_cmp_gt_i32_e64 s0, 0, v36
	v_not_b32_e32 v36, v40
	v_lshlrev_b32_e32 v46, 26, v39
	v_cmp_ne_u32_e32 vcc_lo, 0, v44
	v_ashrrev_i32_e32 v48, 31, v48
	v_lshlrev_b32_e32 v47, 25, v39
	v_ashrrev_i32_e32 v36, 31, v36
	v_lshlrev_b32_e32 v44, 24, v39
	v_xor_b32_e32 v35, vcc_lo, v35
	v_cmp_gt_i32_e32 vcc_lo, 0, v40
	v_not_b32_e32 v40, v41
	v_xor_b32_e32 v48, s0, v48
	v_cmp_gt_i32_e64 s0, 0, v41
	v_and_b32_e32 v35, exec_lo, v35
	v_not_b32_e32 v41, v45
	v_ashrrev_i32_e32 v40, 31, v40
	v_xor_b32_e32 v36, vcc_lo, v36
	v_cmp_gt_i32_e32 vcc_lo, 0, v45
	v_and_b32_e32 v35, v35, v48
	v_not_b32_e32 v45, v46
	v_ashrrev_i32_e32 v41, 31, v41
	v_xor_b32_e32 v40, s0, v40
	v_cmp_gt_i32_e64 s0, 0, v46
	v_and_b32_e32 v35, v35, v36
	v_not_b32_e32 v36, v47
	v_ashrrev_i32_e32 v45, 31, v45
	v_xor_b32_e32 v41, vcc_lo, v41
	v_cmp_gt_i32_e32 vcc_lo, 0, v47
	v_and_b32_e32 v35, v35, v40
	v_not_b32_e32 v40, v44
	v_ashrrev_i32_e32 v36, 31, v36
	v_xor_b32_e32 v45, s0, v45
	v_cmp_gt_i32_e64 s0, 0, v44
	v_and_b32_e32 v35, v35, v41
	v_ashrrev_i32_e32 v40, 31, v40
	v_xor_b32_e32 v36, vcc_lo, v36
	v_mad_u32_u24 v0, v0, s4, v34
	v_mul_u32_u24_e32 v41, 9, v1
	v_and_b32_e32 v35, v35, v45
	v_xor_b32_e32 v34, s0, v40
	s_delay_alu instid0(VALU_DEP_3) | instskip(NEXT) | instid1(VALU_DEP_3)
	v_lshlrev_b32_e32 v44, 2, v41
	v_and_b32_e32 v40, v35, v36
	s_waitcnt vmcnt(0)
	v_mad_u64_u32 v[35:36], null, v0, v38, v[1:2]
	ds_store_2addr_b32 v44, v37, v37 offset0:8 offset1:9
	ds_store_2addr_b32 v44, v37, v37 offset0:10 offset1:11
	ds_store_2addr_b32 v44, v37, v37 offset0:12 offset1:13
	ds_store_2addr_b32 v44, v37, v37 offset0:14 offset1:15
	v_and_b32_e32 v34, v40, v34
	ds_store_b32 v44, v37 offset:64
	s_waitcnt lgkmcnt(0)
	s_waitcnt_vscnt null, 0x0
	s_barrier
	v_lshrrev_b32_e32 v36, 5, v35
	v_mbcnt_lo_u32_b32 v0, v34, 0
	v_lshl_add_u32 v35, v39, 3, v39
	v_cmp_ne_u32_e64 s0, 0, v34
	buffer_gl0_inv
	v_cmp_eq_u32_e32 vcc_lo, 0, v0
	v_add_lshl_u32 v45, v36, v35, 2
	; wave barrier
	s_and_b32 s4, s0, vcc_lo
	s_delay_alu instid0(SALU_CYCLE_1)
	s_and_saveexec_b32 s0, s4
	s_cbranch_execz .LBB14_167
; %bb.166:
	v_bcnt_u32_b32 v34, v34, 0
	ds_store_b32 v45, v34 offset:32
.LBB14_167:
	s_or_b32 exec_lo, exec_lo, s0
	v_xor_b32_e32 v7, 0x7fffffff, v7
	v_not_b32_e32 v6, v6
	; wave barrier
	s_delay_alu instid0(VALU_DEP_1) | instskip(NEXT) | instid1(VALU_DEP_1)
	v_lshrrev_b64 v[34:35], s48, v[6:7]
	v_and_b32_e32 v34, s1, v34
	s_delay_alu instid0(VALU_DEP_1)
	v_and_b32_e32 v35, 1, v34
	v_lshlrev_b32_e32 v37, 30, v34
	v_lshlrev_b32_e32 v38, 29, v34
	;; [unrolled: 1-line block ×4, first 2 shown]
	v_add_co_u32 v35, s0, v35, -1
	s_delay_alu instid0(VALU_DEP_1)
	v_cndmask_b32_e64 v40, 0, 1, s0
	v_not_b32_e32 v48, v37
	v_cmp_gt_i32_e64 s0, 0, v37
	v_not_b32_e32 v37, v38
	v_lshlrev_b32_e32 v46, 26, v34
	v_cmp_ne_u32_e32 vcc_lo, 0, v40
	v_ashrrev_i32_e32 v48, 31, v48
	v_lshlrev_b32_e32 v47, 25, v34
	v_ashrrev_i32_e32 v37, 31, v37
	v_lshlrev_b32_e32 v40, 24, v34
	v_xor_b32_e32 v35, vcc_lo, v35
	v_cmp_gt_i32_e32 vcc_lo, 0, v38
	v_not_b32_e32 v38, v39
	v_xor_b32_e32 v48, s0, v48
	v_cmp_gt_i32_e64 s0, 0, v39
	v_and_b32_e32 v35, exec_lo, v35
	v_not_b32_e32 v39, v41
	v_ashrrev_i32_e32 v38, 31, v38
	v_xor_b32_e32 v37, vcc_lo, v37
	v_cmp_gt_i32_e32 vcc_lo, 0, v41
	v_and_b32_e32 v35, v35, v48
	v_not_b32_e32 v41, v46
	v_ashrrev_i32_e32 v39, 31, v39
	v_xor_b32_e32 v38, s0, v38
	v_cmp_gt_i32_e64 s0, 0, v46
	v_and_b32_e32 v35, v35, v37
	v_not_b32_e32 v37, v47
	v_ashrrev_i32_e32 v41, 31, v41
	v_xor_b32_e32 v39, vcc_lo, v39
	v_cmp_gt_i32_e32 vcc_lo, 0, v47
	v_and_b32_e32 v35, v35, v38
	v_not_b32_e32 v38, v40
	v_ashrrev_i32_e32 v37, 31, v37
	v_xor_b32_e32 v41, s0, v41
	v_lshl_add_u32 v34, v34, 3, v34
	v_and_b32_e32 v35, v35, v39
	v_cmp_gt_i32_e64 s0, 0, v40
	v_ashrrev_i32_e32 v38, 31, v38
	v_xor_b32_e32 v37, vcc_lo, v37
	v_add_lshl_u32 v48, v36, v34, 2
	v_and_b32_e32 v35, v35, v41
	s_delay_alu instid0(VALU_DEP_4) | instskip(SKIP_2) | instid1(VALU_DEP_1)
	v_xor_b32_e32 v34, s0, v38
	ds_load_b32 v46, v48 offset:32
	v_and_b32_e32 v35, v35, v37
	; wave barrier
	v_and_b32_e32 v34, v35, v34
	s_delay_alu instid0(VALU_DEP_1) | instskip(SKIP_1) | instid1(VALU_DEP_2)
	v_mbcnt_lo_u32_b32 v47, v34, 0
	v_cmp_ne_u32_e64 s0, 0, v34
	v_cmp_eq_u32_e32 vcc_lo, 0, v47
	s_delay_alu instid0(VALU_DEP_2) | instskip(NEXT) | instid1(SALU_CYCLE_1)
	s_and_b32 s4, s0, vcc_lo
	s_and_saveexec_b32 s0, s4
	s_cbranch_execz .LBB14_169
; %bb.168:
	s_waitcnt lgkmcnt(0)
	v_bcnt_u32_b32 v34, v34, v46
	ds_store_b32 v48, v34 offset:32
.LBB14_169:
	s_or_b32 exec_lo, exec_lo, s0
	v_xor_b32_e32 v9, 0x7fffffff, v9
	v_not_b32_e32 v8, v8
	; wave barrier
	s_delay_alu instid0(VALU_DEP_1) | instskip(NEXT) | instid1(VALU_DEP_1)
	v_lshrrev_b64 v[34:35], s48, v[8:9]
	v_and_b32_e32 v34, s1, v34
	s_delay_alu instid0(VALU_DEP_1)
	v_and_b32_e32 v35, 1, v34
	v_lshlrev_b32_e32 v37, 30, v34
	v_lshlrev_b32_e32 v38, 29, v34
	;; [unrolled: 1-line block ×4, first 2 shown]
	v_add_co_u32 v35, s0, v35, -1
	s_delay_alu instid0(VALU_DEP_1)
	v_cndmask_b32_e64 v40, 0, 1, s0
	v_not_b32_e32 v51, v37
	v_cmp_gt_i32_e64 s0, 0, v37
	v_not_b32_e32 v37, v38
	v_lshlrev_b32_e32 v49, 26, v34
	v_cmp_ne_u32_e32 vcc_lo, 0, v40
	v_ashrrev_i32_e32 v51, 31, v51
	v_lshlrev_b32_e32 v50, 25, v34
	v_ashrrev_i32_e32 v37, 31, v37
	v_lshlrev_b32_e32 v40, 24, v34
	v_xor_b32_e32 v35, vcc_lo, v35
	v_cmp_gt_i32_e32 vcc_lo, 0, v38
	v_not_b32_e32 v38, v39
	v_xor_b32_e32 v51, s0, v51
	v_cmp_gt_i32_e64 s0, 0, v39
	v_and_b32_e32 v35, exec_lo, v35
	v_not_b32_e32 v39, v41
	v_ashrrev_i32_e32 v38, 31, v38
	v_xor_b32_e32 v37, vcc_lo, v37
	v_cmp_gt_i32_e32 vcc_lo, 0, v41
	v_and_b32_e32 v35, v35, v51
	v_not_b32_e32 v41, v49
	v_ashrrev_i32_e32 v39, 31, v39
	v_xor_b32_e32 v38, s0, v38
	v_cmp_gt_i32_e64 s0, 0, v49
	v_and_b32_e32 v35, v35, v37
	v_not_b32_e32 v37, v50
	v_ashrrev_i32_e32 v41, 31, v41
	v_xor_b32_e32 v39, vcc_lo, v39
	v_cmp_gt_i32_e32 vcc_lo, 0, v50
	v_and_b32_e32 v35, v35, v38
	v_not_b32_e32 v38, v40
	v_ashrrev_i32_e32 v37, 31, v37
	v_xor_b32_e32 v41, s0, v41
	v_lshl_add_u32 v34, v34, 3, v34
	v_and_b32_e32 v35, v35, v39
	v_cmp_gt_i32_e64 s0, 0, v40
	v_ashrrev_i32_e32 v38, 31, v38
	v_xor_b32_e32 v37, vcc_lo, v37
	v_add_lshl_u32 v51, v36, v34, 2
	v_and_b32_e32 v35, v35, v41
	s_delay_alu instid0(VALU_DEP_4) | instskip(SKIP_2) | instid1(VALU_DEP_1)
	v_xor_b32_e32 v34, s0, v38
	ds_load_b32 v49, v51 offset:32
	v_and_b32_e32 v35, v35, v37
	; wave barrier
	v_and_b32_e32 v34, v35, v34
	s_delay_alu instid0(VALU_DEP_1) | instskip(SKIP_1) | instid1(VALU_DEP_2)
	v_mbcnt_lo_u32_b32 v50, v34, 0
	v_cmp_ne_u32_e64 s0, 0, v34
	v_cmp_eq_u32_e32 vcc_lo, 0, v50
	s_delay_alu instid0(VALU_DEP_2) | instskip(NEXT) | instid1(SALU_CYCLE_1)
	s_and_b32 s4, s0, vcc_lo
	s_and_saveexec_b32 s0, s4
	s_cbranch_execz .LBB14_171
; %bb.170:
	s_waitcnt lgkmcnt(0)
	v_bcnt_u32_b32 v34, v34, v49
	ds_store_b32 v51, v34 offset:32
.LBB14_171:
	s_or_b32 exec_lo, exec_lo, s0
	v_xor_b32_e32 v11, 0x7fffffff, v11
	v_not_b32_e32 v10, v10
	; wave barrier
	s_delay_alu instid0(VALU_DEP_1) | instskip(NEXT) | instid1(VALU_DEP_1)
	v_lshrrev_b64 v[34:35], s48, v[10:11]
	v_and_b32_e32 v34, s1, v34
	s_delay_alu instid0(VALU_DEP_1)
	v_and_b32_e32 v35, 1, v34
	v_lshlrev_b32_e32 v37, 30, v34
	v_lshlrev_b32_e32 v38, 29, v34
	;; [unrolled: 1-line block ×4, first 2 shown]
	v_add_co_u32 v35, s0, v35, -1
	s_delay_alu instid0(VALU_DEP_1)
	v_cndmask_b32_e64 v40, 0, 1, s0
	v_not_b32_e32 v54, v37
	v_cmp_gt_i32_e64 s0, 0, v37
	v_not_b32_e32 v37, v38
	v_lshlrev_b32_e32 v52, 26, v34
	v_cmp_ne_u32_e32 vcc_lo, 0, v40
	v_ashrrev_i32_e32 v54, 31, v54
	v_lshlrev_b32_e32 v53, 25, v34
	v_ashrrev_i32_e32 v37, 31, v37
	v_lshlrev_b32_e32 v40, 24, v34
	v_xor_b32_e32 v35, vcc_lo, v35
	v_cmp_gt_i32_e32 vcc_lo, 0, v38
	v_not_b32_e32 v38, v39
	v_xor_b32_e32 v54, s0, v54
	v_cmp_gt_i32_e64 s0, 0, v39
	v_and_b32_e32 v35, exec_lo, v35
	v_not_b32_e32 v39, v41
	v_ashrrev_i32_e32 v38, 31, v38
	v_xor_b32_e32 v37, vcc_lo, v37
	v_cmp_gt_i32_e32 vcc_lo, 0, v41
	v_and_b32_e32 v35, v35, v54
	v_not_b32_e32 v41, v52
	v_ashrrev_i32_e32 v39, 31, v39
	v_xor_b32_e32 v38, s0, v38
	v_cmp_gt_i32_e64 s0, 0, v52
	v_and_b32_e32 v35, v35, v37
	v_not_b32_e32 v37, v53
	v_ashrrev_i32_e32 v41, 31, v41
	v_xor_b32_e32 v39, vcc_lo, v39
	v_cmp_gt_i32_e32 vcc_lo, 0, v53
	v_and_b32_e32 v35, v35, v38
	v_not_b32_e32 v38, v40
	v_ashrrev_i32_e32 v37, 31, v37
	v_xor_b32_e32 v41, s0, v41
	v_lshl_add_u32 v34, v34, 3, v34
	v_and_b32_e32 v35, v35, v39
	v_cmp_gt_i32_e64 s0, 0, v40
	v_ashrrev_i32_e32 v38, 31, v38
	v_xor_b32_e32 v37, vcc_lo, v37
	v_add_lshl_u32 v54, v36, v34, 2
	v_and_b32_e32 v35, v35, v41
	s_delay_alu instid0(VALU_DEP_4) | instskip(SKIP_2) | instid1(VALU_DEP_1)
	v_xor_b32_e32 v34, s0, v38
	ds_load_b32 v52, v54 offset:32
	v_and_b32_e32 v35, v35, v37
	; wave barrier
	v_and_b32_e32 v34, v35, v34
	s_delay_alu instid0(VALU_DEP_1) | instskip(SKIP_1) | instid1(VALU_DEP_2)
	v_mbcnt_lo_u32_b32 v53, v34, 0
	v_cmp_ne_u32_e64 s0, 0, v34
	v_cmp_eq_u32_e32 vcc_lo, 0, v53
	s_delay_alu instid0(VALU_DEP_2) | instskip(NEXT) | instid1(SALU_CYCLE_1)
	s_and_b32 s4, s0, vcc_lo
	s_and_saveexec_b32 s0, s4
	s_cbranch_execz .LBB14_173
; %bb.172:
	s_waitcnt lgkmcnt(0)
	v_bcnt_u32_b32 v34, v34, v52
	ds_store_b32 v54, v34 offset:32
.LBB14_173:
	s_or_b32 exec_lo, exec_lo, s0
	v_xor_b32_e32 v15, 0x7fffffff, v15
	v_not_b32_e32 v14, v14
	; wave barrier
	s_delay_alu instid0(VALU_DEP_1) | instskip(NEXT) | instid1(VALU_DEP_1)
	v_lshrrev_b64 v[34:35], s48, v[14:15]
	v_and_b32_e32 v34, s1, v34
	s_delay_alu instid0(VALU_DEP_1)
	v_and_b32_e32 v35, 1, v34
	v_lshlrev_b32_e32 v37, 30, v34
	v_lshlrev_b32_e32 v38, 29, v34
	;; [unrolled: 1-line block ×4, first 2 shown]
	v_add_co_u32 v35, s0, v35, -1
	s_delay_alu instid0(VALU_DEP_1)
	v_cndmask_b32_e64 v40, 0, 1, s0
	v_not_b32_e32 v57, v37
	v_cmp_gt_i32_e64 s0, 0, v37
	v_not_b32_e32 v37, v38
	v_lshlrev_b32_e32 v55, 26, v34
	v_cmp_ne_u32_e32 vcc_lo, 0, v40
	v_ashrrev_i32_e32 v57, 31, v57
	v_lshlrev_b32_e32 v56, 25, v34
	v_ashrrev_i32_e32 v37, 31, v37
	v_lshlrev_b32_e32 v40, 24, v34
	v_xor_b32_e32 v35, vcc_lo, v35
	v_cmp_gt_i32_e32 vcc_lo, 0, v38
	v_not_b32_e32 v38, v39
	v_xor_b32_e32 v57, s0, v57
	v_cmp_gt_i32_e64 s0, 0, v39
	v_and_b32_e32 v35, exec_lo, v35
	v_not_b32_e32 v39, v41
	v_ashrrev_i32_e32 v38, 31, v38
	v_xor_b32_e32 v37, vcc_lo, v37
	v_cmp_gt_i32_e32 vcc_lo, 0, v41
	v_and_b32_e32 v35, v35, v57
	v_not_b32_e32 v41, v55
	v_ashrrev_i32_e32 v39, 31, v39
	v_xor_b32_e32 v38, s0, v38
	v_cmp_gt_i32_e64 s0, 0, v55
	v_and_b32_e32 v35, v35, v37
	v_not_b32_e32 v37, v56
	v_ashrrev_i32_e32 v41, 31, v41
	v_xor_b32_e32 v39, vcc_lo, v39
	v_cmp_gt_i32_e32 vcc_lo, 0, v56
	v_and_b32_e32 v35, v35, v38
	v_not_b32_e32 v38, v40
	v_ashrrev_i32_e32 v37, 31, v37
	v_xor_b32_e32 v41, s0, v41
	v_lshl_add_u32 v34, v34, 3, v34
	v_and_b32_e32 v35, v35, v39
	v_cmp_gt_i32_e64 s0, 0, v40
	v_ashrrev_i32_e32 v38, 31, v38
	v_xor_b32_e32 v37, vcc_lo, v37
	v_add_lshl_u32 v57, v36, v34, 2
	v_and_b32_e32 v35, v35, v41
	s_delay_alu instid0(VALU_DEP_4) | instskip(SKIP_2) | instid1(VALU_DEP_1)
	v_xor_b32_e32 v34, s0, v38
	ds_load_b32 v55, v57 offset:32
	v_and_b32_e32 v35, v35, v37
	; wave barrier
	v_and_b32_e32 v34, v35, v34
	s_delay_alu instid0(VALU_DEP_1) | instskip(SKIP_1) | instid1(VALU_DEP_2)
	v_mbcnt_lo_u32_b32 v56, v34, 0
	v_cmp_ne_u32_e64 s0, 0, v34
	v_cmp_eq_u32_e32 vcc_lo, 0, v56
	s_delay_alu instid0(VALU_DEP_2) | instskip(NEXT) | instid1(SALU_CYCLE_1)
	s_and_b32 s4, s0, vcc_lo
	s_and_saveexec_b32 s0, s4
	s_cbranch_execz .LBB14_175
; %bb.174:
	s_waitcnt lgkmcnt(0)
	v_bcnt_u32_b32 v34, v34, v55
	ds_store_b32 v57, v34 offset:32
.LBB14_175:
	s_or_b32 exec_lo, exec_lo, s0
	v_xor_b32_e32 v19, 0x7fffffff, v19
	v_not_b32_e32 v18, v18
	; wave barrier
	s_delay_alu instid0(VALU_DEP_1) | instskip(NEXT) | instid1(VALU_DEP_1)
	v_lshrrev_b64 v[34:35], s48, v[18:19]
	v_and_b32_e32 v34, s1, v34
	s_delay_alu instid0(VALU_DEP_1)
	v_and_b32_e32 v35, 1, v34
	v_lshlrev_b32_e32 v37, 30, v34
	v_lshlrev_b32_e32 v38, 29, v34
	;; [unrolled: 1-line block ×4, first 2 shown]
	v_add_co_u32 v35, s0, v35, -1
	s_delay_alu instid0(VALU_DEP_1)
	v_cndmask_b32_e64 v40, 0, 1, s0
	v_not_b32_e32 v60, v37
	v_cmp_gt_i32_e64 s0, 0, v37
	v_not_b32_e32 v37, v38
	v_lshlrev_b32_e32 v58, 26, v34
	v_cmp_ne_u32_e32 vcc_lo, 0, v40
	v_ashrrev_i32_e32 v60, 31, v60
	v_lshlrev_b32_e32 v59, 25, v34
	v_ashrrev_i32_e32 v37, 31, v37
	v_lshlrev_b32_e32 v40, 24, v34
	v_xor_b32_e32 v35, vcc_lo, v35
	v_cmp_gt_i32_e32 vcc_lo, 0, v38
	v_not_b32_e32 v38, v39
	v_xor_b32_e32 v60, s0, v60
	v_cmp_gt_i32_e64 s0, 0, v39
	v_and_b32_e32 v35, exec_lo, v35
	v_not_b32_e32 v39, v41
	v_ashrrev_i32_e32 v38, 31, v38
	v_xor_b32_e32 v37, vcc_lo, v37
	v_cmp_gt_i32_e32 vcc_lo, 0, v41
	v_and_b32_e32 v35, v35, v60
	v_not_b32_e32 v41, v58
	v_ashrrev_i32_e32 v39, 31, v39
	v_xor_b32_e32 v38, s0, v38
	v_cmp_gt_i32_e64 s0, 0, v58
	v_and_b32_e32 v35, v35, v37
	v_not_b32_e32 v37, v59
	v_ashrrev_i32_e32 v41, 31, v41
	v_xor_b32_e32 v39, vcc_lo, v39
	v_cmp_gt_i32_e32 vcc_lo, 0, v59
	v_and_b32_e32 v35, v35, v38
	v_not_b32_e32 v38, v40
	v_ashrrev_i32_e32 v37, 31, v37
	v_xor_b32_e32 v41, s0, v41
	v_lshl_add_u32 v34, v34, 3, v34
	v_and_b32_e32 v35, v35, v39
	v_cmp_gt_i32_e64 s0, 0, v40
	v_ashrrev_i32_e32 v38, 31, v38
	v_xor_b32_e32 v37, vcc_lo, v37
	v_add_lshl_u32 v60, v36, v34, 2
	v_and_b32_e32 v35, v35, v41
	s_delay_alu instid0(VALU_DEP_4) | instskip(SKIP_2) | instid1(VALU_DEP_1)
	v_xor_b32_e32 v34, s0, v38
	ds_load_b32 v58, v60 offset:32
	v_and_b32_e32 v35, v35, v37
	; wave barrier
	v_and_b32_e32 v34, v35, v34
	s_delay_alu instid0(VALU_DEP_1) | instskip(SKIP_1) | instid1(VALU_DEP_2)
	v_mbcnt_lo_u32_b32 v59, v34, 0
	v_cmp_ne_u32_e64 s0, 0, v34
	v_cmp_eq_u32_e32 vcc_lo, 0, v59
	s_delay_alu instid0(VALU_DEP_2) | instskip(NEXT) | instid1(SALU_CYCLE_1)
	s_and_b32 s4, s0, vcc_lo
	s_and_saveexec_b32 s0, s4
	s_cbranch_execz .LBB14_177
; %bb.176:
	s_waitcnt lgkmcnt(0)
	v_bcnt_u32_b32 v34, v34, v58
	ds_store_b32 v60, v34 offset:32
.LBB14_177:
	s_or_b32 exec_lo, exec_lo, s0
	v_xor_b32_e32 v23, 0x7fffffff, v23
	v_not_b32_e32 v22, v22
	; wave barrier
	s_delay_alu instid0(VALU_DEP_1) | instskip(NEXT) | instid1(VALU_DEP_1)
	v_lshrrev_b64 v[34:35], s48, v[22:23]
	v_and_b32_e32 v34, s1, v34
	s_delay_alu instid0(VALU_DEP_1)
	v_and_b32_e32 v35, 1, v34
	v_lshlrev_b32_e32 v37, 30, v34
	v_lshlrev_b32_e32 v38, 29, v34
	v_lshlrev_b32_e32 v39, 28, v34
	v_lshlrev_b32_e32 v41, 27, v34
	v_add_co_u32 v35, s0, v35, -1
	s_delay_alu instid0(VALU_DEP_1)
	v_cndmask_b32_e64 v40, 0, 1, s0
	v_not_b32_e32 v63, v37
	v_cmp_gt_i32_e64 s0, 0, v37
	v_not_b32_e32 v37, v38
	v_lshlrev_b32_e32 v61, 26, v34
	v_cmp_ne_u32_e32 vcc_lo, 0, v40
	v_ashrrev_i32_e32 v63, 31, v63
	v_lshlrev_b32_e32 v62, 25, v34
	v_ashrrev_i32_e32 v37, 31, v37
	v_lshlrev_b32_e32 v40, 24, v34
	v_xor_b32_e32 v35, vcc_lo, v35
	v_cmp_gt_i32_e32 vcc_lo, 0, v38
	v_not_b32_e32 v38, v39
	v_xor_b32_e32 v63, s0, v63
	v_cmp_gt_i32_e64 s0, 0, v39
	v_and_b32_e32 v35, exec_lo, v35
	v_not_b32_e32 v39, v41
	v_ashrrev_i32_e32 v38, 31, v38
	v_xor_b32_e32 v37, vcc_lo, v37
	v_cmp_gt_i32_e32 vcc_lo, 0, v41
	v_and_b32_e32 v35, v35, v63
	v_not_b32_e32 v41, v61
	v_ashrrev_i32_e32 v39, 31, v39
	v_xor_b32_e32 v38, s0, v38
	v_cmp_gt_i32_e64 s0, 0, v61
	v_and_b32_e32 v35, v35, v37
	v_not_b32_e32 v37, v62
	v_ashrrev_i32_e32 v41, 31, v41
	v_xor_b32_e32 v39, vcc_lo, v39
	v_cmp_gt_i32_e32 vcc_lo, 0, v62
	v_and_b32_e32 v35, v35, v38
	v_not_b32_e32 v38, v40
	v_ashrrev_i32_e32 v37, 31, v37
	v_xor_b32_e32 v41, s0, v41
	v_lshl_add_u32 v34, v34, 3, v34
	v_and_b32_e32 v35, v35, v39
	v_cmp_gt_i32_e64 s0, 0, v40
	v_ashrrev_i32_e32 v38, 31, v38
	v_xor_b32_e32 v37, vcc_lo, v37
	v_add_lshl_u32 v63, v36, v34, 2
	v_and_b32_e32 v35, v35, v41
	s_delay_alu instid0(VALU_DEP_4) | instskip(SKIP_2) | instid1(VALU_DEP_1)
	v_xor_b32_e32 v34, s0, v38
	ds_load_b32 v61, v63 offset:32
	v_and_b32_e32 v35, v35, v37
	; wave barrier
	v_and_b32_e32 v34, v35, v34
	s_delay_alu instid0(VALU_DEP_1) | instskip(SKIP_1) | instid1(VALU_DEP_2)
	v_mbcnt_lo_u32_b32 v62, v34, 0
	v_cmp_ne_u32_e64 s0, 0, v34
	v_cmp_eq_u32_e32 vcc_lo, 0, v62
	s_delay_alu instid0(VALU_DEP_2) | instskip(NEXT) | instid1(SALU_CYCLE_1)
	s_and_b32 s4, s0, vcc_lo
	s_and_saveexec_b32 s0, s4
	s_cbranch_execz .LBB14_179
; %bb.178:
	s_waitcnt lgkmcnt(0)
	v_bcnt_u32_b32 v34, v34, v61
	ds_store_b32 v63, v34 offset:32
.LBB14_179:
	s_or_b32 exec_lo, exec_lo, s0
	v_xor_b32_e32 v27, 0x7fffffff, v27
	v_not_b32_e32 v26, v26
	; wave barrier
	s_delay_alu instid0(VALU_DEP_1) | instskip(NEXT) | instid1(VALU_DEP_1)
	v_lshrrev_b64 v[34:35], s48, v[26:27]
	v_and_b32_e32 v34, s1, v34
	s_delay_alu instid0(VALU_DEP_1)
	v_and_b32_e32 v35, 1, v34
	v_lshlrev_b32_e32 v37, 30, v34
	v_lshlrev_b32_e32 v38, 29, v34
	;; [unrolled: 1-line block ×4, first 2 shown]
	v_add_co_u32 v35, s0, v35, -1
	s_delay_alu instid0(VALU_DEP_1)
	v_cndmask_b32_e64 v40, 0, 1, s0
	v_not_b32_e32 v66, v37
	v_cmp_gt_i32_e64 s0, 0, v37
	v_not_b32_e32 v37, v38
	v_lshlrev_b32_e32 v64, 26, v34
	v_cmp_ne_u32_e32 vcc_lo, 0, v40
	v_ashrrev_i32_e32 v66, 31, v66
	v_lshlrev_b32_e32 v65, 25, v34
	v_ashrrev_i32_e32 v37, 31, v37
	v_lshlrev_b32_e32 v40, 24, v34
	v_xor_b32_e32 v35, vcc_lo, v35
	v_cmp_gt_i32_e32 vcc_lo, 0, v38
	v_not_b32_e32 v38, v39
	v_xor_b32_e32 v66, s0, v66
	v_cmp_gt_i32_e64 s0, 0, v39
	v_and_b32_e32 v35, exec_lo, v35
	v_not_b32_e32 v39, v41
	v_ashrrev_i32_e32 v38, 31, v38
	v_xor_b32_e32 v37, vcc_lo, v37
	v_cmp_gt_i32_e32 vcc_lo, 0, v41
	v_and_b32_e32 v35, v35, v66
	v_not_b32_e32 v41, v64
	v_ashrrev_i32_e32 v39, 31, v39
	v_xor_b32_e32 v38, s0, v38
	v_cmp_gt_i32_e64 s0, 0, v64
	v_and_b32_e32 v35, v35, v37
	v_not_b32_e32 v37, v65
	v_ashrrev_i32_e32 v41, 31, v41
	v_xor_b32_e32 v39, vcc_lo, v39
	v_cmp_gt_i32_e32 vcc_lo, 0, v65
	v_and_b32_e32 v35, v35, v38
	v_not_b32_e32 v38, v40
	v_ashrrev_i32_e32 v37, 31, v37
	v_xor_b32_e32 v41, s0, v41
	v_lshl_add_u32 v34, v34, 3, v34
	v_and_b32_e32 v35, v35, v39
	v_cmp_gt_i32_e64 s0, 0, v40
	v_ashrrev_i32_e32 v38, 31, v38
	v_xor_b32_e32 v37, vcc_lo, v37
	v_add_lshl_u32 v66, v36, v34, 2
	v_and_b32_e32 v35, v35, v41
	s_delay_alu instid0(VALU_DEP_4) | instskip(SKIP_2) | instid1(VALU_DEP_1)
	v_xor_b32_e32 v34, s0, v38
	ds_load_b32 v64, v66 offset:32
	v_and_b32_e32 v35, v35, v37
	; wave barrier
	v_and_b32_e32 v34, v35, v34
	s_delay_alu instid0(VALU_DEP_1) | instskip(SKIP_1) | instid1(VALU_DEP_2)
	v_mbcnt_lo_u32_b32 v65, v34, 0
	v_cmp_ne_u32_e64 s0, 0, v34
	v_cmp_eq_u32_e32 vcc_lo, 0, v65
	s_delay_alu instid0(VALU_DEP_2) | instskip(NEXT) | instid1(SALU_CYCLE_1)
	s_and_b32 s4, s0, vcc_lo
	s_and_saveexec_b32 s0, s4
	s_cbranch_execz .LBB14_181
; %bb.180:
	s_waitcnt lgkmcnt(0)
	v_bcnt_u32_b32 v34, v34, v64
	ds_store_b32 v66, v34 offset:32
.LBB14_181:
	s_or_b32 exec_lo, exec_lo, s0
	v_xor_b32_e32 v31, 0x7fffffff, v31
	v_not_b32_e32 v30, v30
	; wave barrier
	s_delay_alu instid0(VALU_DEP_1) | instskip(NEXT) | instid1(VALU_DEP_1)
	v_lshrrev_b64 v[34:35], s48, v[30:31]
	v_and_b32_e32 v34, s1, v34
	s_delay_alu instid0(VALU_DEP_1)
	v_and_b32_e32 v35, 1, v34
	v_lshlrev_b32_e32 v37, 30, v34
	v_lshlrev_b32_e32 v38, 29, v34
	;; [unrolled: 1-line block ×4, first 2 shown]
	v_add_co_u32 v35, s0, v35, -1
	s_delay_alu instid0(VALU_DEP_1)
	v_cndmask_b32_e64 v40, 0, 1, s0
	v_not_b32_e32 v69, v37
	v_cmp_gt_i32_e64 s0, 0, v37
	v_not_b32_e32 v37, v38
	v_lshlrev_b32_e32 v67, 26, v34
	v_cmp_ne_u32_e32 vcc_lo, 0, v40
	v_ashrrev_i32_e32 v69, 31, v69
	v_lshlrev_b32_e32 v68, 25, v34
	v_ashrrev_i32_e32 v37, 31, v37
	v_lshlrev_b32_e32 v40, 24, v34
	v_xor_b32_e32 v35, vcc_lo, v35
	v_cmp_gt_i32_e32 vcc_lo, 0, v38
	v_not_b32_e32 v38, v39
	v_xor_b32_e32 v69, s0, v69
	v_cmp_gt_i32_e64 s0, 0, v39
	v_and_b32_e32 v35, exec_lo, v35
	v_not_b32_e32 v39, v41
	v_ashrrev_i32_e32 v38, 31, v38
	v_xor_b32_e32 v37, vcc_lo, v37
	v_cmp_gt_i32_e32 vcc_lo, 0, v41
	v_and_b32_e32 v35, v35, v69
	v_not_b32_e32 v41, v67
	v_ashrrev_i32_e32 v39, 31, v39
	v_xor_b32_e32 v38, s0, v38
	v_cmp_gt_i32_e64 s0, 0, v67
	v_and_b32_e32 v35, v35, v37
	v_not_b32_e32 v37, v68
	v_ashrrev_i32_e32 v41, 31, v41
	v_xor_b32_e32 v39, vcc_lo, v39
	v_cmp_gt_i32_e32 vcc_lo, 0, v68
	v_and_b32_e32 v35, v35, v38
	v_not_b32_e32 v38, v40
	v_ashrrev_i32_e32 v37, 31, v37
	v_xor_b32_e32 v41, s0, v41
	v_lshl_add_u32 v34, v34, 3, v34
	v_and_b32_e32 v35, v35, v39
	v_cmp_gt_i32_e64 s0, 0, v40
	v_ashrrev_i32_e32 v38, 31, v38
	v_xor_b32_e32 v37, vcc_lo, v37
	v_add_lshl_u32 v69, v36, v34, 2
	v_and_b32_e32 v35, v35, v41
	s_delay_alu instid0(VALU_DEP_4) | instskip(SKIP_2) | instid1(VALU_DEP_1)
	v_xor_b32_e32 v34, s0, v38
	ds_load_b32 v67, v69 offset:32
	v_and_b32_e32 v35, v35, v37
	; wave barrier
	v_and_b32_e32 v34, v35, v34
	s_delay_alu instid0(VALU_DEP_1) | instskip(SKIP_1) | instid1(VALU_DEP_2)
	v_mbcnt_lo_u32_b32 v68, v34, 0
	v_cmp_ne_u32_e64 s0, 0, v34
	v_cmp_eq_u32_e32 vcc_lo, 0, v68
	s_delay_alu instid0(VALU_DEP_2) | instskip(NEXT) | instid1(SALU_CYCLE_1)
	s_and_b32 s4, s0, vcc_lo
	s_and_saveexec_b32 s0, s4
	s_cbranch_execz .LBB14_183
; %bb.182:
	s_waitcnt lgkmcnt(0)
	v_bcnt_u32_b32 v34, v34, v67
	ds_store_b32 v69, v34 offset:32
.LBB14_183:
	s_or_b32 exec_lo, exec_lo, s0
	v_xor_b32_e32 v33, 0x7fffffff, v33
	v_not_b32_e32 v32, v32
	; wave barrier
	s_delay_alu instid0(VALU_DEP_1) | instskip(NEXT) | instid1(VALU_DEP_1)
	v_lshrrev_b64 v[34:35], s48, v[32:33]
	v_and_b32_e32 v34, s1, v34
	s_delay_alu instid0(VALU_DEP_1)
	v_and_b32_e32 v35, 1, v34
	v_lshlrev_b32_e32 v37, 30, v34
	v_lshlrev_b32_e32 v38, 29, v34
	;; [unrolled: 1-line block ×4, first 2 shown]
	v_add_co_u32 v35, s0, v35, -1
	s_delay_alu instid0(VALU_DEP_1)
	v_cndmask_b32_e64 v40, 0, 1, s0
	v_not_b32_e32 v72, v37
	v_cmp_gt_i32_e64 s0, 0, v37
	v_not_b32_e32 v37, v38
	v_lshlrev_b32_e32 v70, 26, v34
	v_cmp_ne_u32_e32 vcc_lo, 0, v40
	v_ashrrev_i32_e32 v72, 31, v72
	v_lshlrev_b32_e32 v71, 25, v34
	v_ashrrev_i32_e32 v37, 31, v37
	v_lshlrev_b32_e32 v40, 24, v34
	v_xor_b32_e32 v35, vcc_lo, v35
	v_cmp_gt_i32_e32 vcc_lo, 0, v38
	v_not_b32_e32 v38, v39
	v_xor_b32_e32 v72, s0, v72
	v_cmp_gt_i32_e64 s0, 0, v39
	v_and_b32_e32 v35, exec_lo, v35
	v_not_b32_e32 v39, v41
	v_ashrrev_i32_e32 v38, 31, v38
	v_xor_b32_e32 v37, vcc_lo, v37
	v_cmp_gt_i32_e32 vcc_lo, 0, v41
	v_and_b32_e32 v35, v35, v72
	v_not_b32_e32 v41, v70
	v_ashrrev_i32_e32 v39, 31, v39
	v_xor_b32_e32 v38, s0, v38
	v_cmp_gt_i32_e64 s0, 0, v70
	v_and_b32_e32 v35, v35, v37
	v_not_b32_e32 v37, v71
	v_ashrrev_i32_e32 v41, 31, v41
	v_xor_b32_e32 v39, vcc_lo, v39
	v_cmp_gt_i32_e32 vcc_lo, 0, v71
	v_and_b32_e32 v35, v35, v38
	v_not_b32_e32 v38, v40
	v_ashrrev_i32_e32 v37, 31, v37
	v_xor_b32_e32 v41, s0, v41
	v_lshl_add_u32 v34, v34, 3, v34
	v_and_b32_e32 v35, v35, v39
	v_cmp_gt_i32_e64 s0, 0, v40
	v_ashrrev_i32_e32 v38, 31, v38
	v_xor_b32_e32 v37, vcc_lo, v37
	v_add_lshl_u32 v72, v36, v34, 2
	v_and_b32_e32 v35, v35, v41
	s_delay_alu instid0(VALU_DEP_4) | instskip(SKIP_2) | instid1(VALU_DEP_1)
	v_xor_b32_e32 v34, s0, v38
	ds_load_b32 v70, v72 offset:32
	v_and_b32_e32 v35, v35, v37
	; wave barrier
	v_and_b32_e32 v34, v35, v34
	s_delay_alu instid0(VALU_DEP_1) | instskip(SKIP_1) | instid1(VALU_DEP_2)
	v_mbcnt_lo_u32_b32 v71, v34, 0
	v_cmp_ne_u32_e64 s0, 0, v34
	v_cmp_eq_u32_e32 vcc_lo, 0, v71
	s_delay_alu instid0(VALU_DEP_2) | instskip(NEXT) | instid1(SALU_CYCLE_1)
	s_and_b32 s4, s0, vcc_lo
	s_and_saveexec_b32 s0, s4
	s_cbranch_execz .LBB14_185
; %bb.184:
	s_waitcnt lgkmcnt(0)
	v_bcnt_u32_b32 v34, v34, v70
	ds_store_b32 v72, v34 offset:32
.LBB14_185:
	s_or_b32 exec_lo, exec_lo, s0
	v_xor_b32_e32 v29, 0x7fffffff, v29
	v_not_b32_e32 v28, v28
	; wave barrier
	s_delay_alu instid0(VALU_DEP_1) | instskip(NEXT) | instid1(VALU_DEP_1)
	v_lshrrev_b64 v[34:35], s48, v[28:29]
	v_and_b32_e32 v34, s1, v34
	s_delay_alu instid0(VALU_DEP_1)
	v_and_b32_e32 v35, 1, v34
	v_lshlrev_b32_e32 v37, 30, v34
	v_lshlrev_b32_e32 v38, 29, v34
	;; [unrolled: 1-line block ×4, first 2 shown]
	v_add_co_u32 v35, s0, v35, -1
	s_delay_alu instid0(VALU_DEP_1)
	v_cndmask_b32_e64 v40, 0, 1, s0
	v_not_b32_e32 v75, v37
	v_cmp_gt_i32_e64 s0, 0, v37
	v_not_b32_e32 v37, v38
	v_lshlrev_b32_e32 v73, 26, v34
	v_cmp_ne_u32_e32 vcc_lo, 0, v40
	v_ashrrev_i32_e32 v75, 31, v75
	v_lshlrev_b32_e32 v74, 25, v34
	v_ashrrev_i32_e32 v37, 31, v37
	v_lshlrev_b32_e32 v40, 24, v34
	v_xor_b32_e32 v35, vcc_lo, v35
	v_cmp_gt_i32_e32 vcc_lo, 0, v38
	v_not_b32_e32 v38, v39
	v_xor_b32_e32 v75, s0, v75
	v_cmp_gt_i32_e64 s0, 0, v39
	v_and_b32_e32 v35, exec_lo, v35
	v_not_b32_e32 v39, v41
	v_ashrrev_i32_e32 v38, 31, v38
	v_xor_b32_e32 v37, vcc_lo, v37
	v_cmp_gt_i32_e32 vcc_lo, 0, v41
	v_and_b32_e32 v35, v35, v75
	v_not_b32_e32 v41, v73
	v_ashrrev_i32_e32 v39, 31, v39
	v_xor_b32_e32 v38, s0, v38
	v_cmp_gt_i32_e64 s0, 0, v73
	v_and_b32_e32 v35, v35, v37
	v_not_b32_e32 v37, v74
	v_ashrrev_i32_e32 v41, 31, v41
	v_xor_b32_e32 v39, vcc_lo, v39
	v_cmp_gt_i32_e32 vcc_lo, 0, v74
	v_and_b32_e32 v35, v35, v38
	v_not_b32_e32 v38, v40
	v_ashrrev_i32_e32 v37, 31, v37
	v_xor_b32_e32 v41, s0, v41
	v_lshl_add_u32 v34, v34, 3, v34
	v_and_b32_e32 v35, v35, v39
	v_cmp_gt_i32_e64 s0, 0, v40
	v_ashrrev_i32_e32 v38, 31, v38
	v_xor_b32_e32 v37, vcc_lo, v37
	v_add_lshl_u32 v75, v36, v34, 2
	v_and_b32_e32 v35, v35, v41
	s_delay_alu instid0(VALU_DEP_4) | instskip(SKIP_2) | instid1(VALU_DEP_1)
	v_xor_b32_e32 v34, s0, v38
	ds_load_b32 v73, v75 offset:32
	v_and_b32_e32 v35, v35, v37
	; wave barrier
	v_and_b32_e32 v34, v35, v34
	s_delay_alu instid0(VALU_DEP_1) | instskip(SKIP_1) | instid1(VALU_DEP_2)
	v_mbcnt_lo_u32_b32 v74, v34, 0
	v_cmp_ne_u32_e64 s0, 0, v34
	v_cmp_eq_u32_e32 vcc_lo, 0, v74
	s_delay_alu instid0(VALU_DEP_2) | instskip(NEXT) | instid1(SALU_CYCLE_1)
	s_and_b32 s4, s0, vcc_lo
	s_and_saveexec_b32 s0, s4
	s_cbranch_execz .LBB14_187
; %bb.186:
	s_waitcnt lgkmcnt(0)
	v_bcnt_u32_b32 v34, v34, v73
	ds_store_b32 v75, v34 offset:32
.LBB14_187:
	s_or_b32 exec_lo, exec_lo, s0
	v_xor_b32_e32 v25, 0x7fffffff, v25
	v_not_b32_e32 v24, v24
	; wave barrier
	s_delay_alu instid0(VALU_DEP_1) | instskip(NEXT) | instid1(VALU_DEP_1)
	v_lshrrev_b64 v[34:35], s48, v[24:25]
	v_and_b32_e32 v34, s1, v34
	s_delay_alu instid0(VALU_DEP_1)
	v_and_b32_e32 v35, 1, v34
	v_lshlrev_b32_e32 v37, 30, v34
	v_lshlrev_b32_e32 v38, 29, v34
	;; [unrolled: 1-line block ×4, first 2 shown]
	v_add_co_u32 v35, s0, v35, -1
	s_delay_alu instid0(VALU_DEP_1)
	v_cndmask_b32_e64 v40, 0, 1, s0
	v_not_b32_e32 v78, v37
	v_cmp_gt_i32_e64 s0, 0, v37
	v_not_b32_e32 v37, v38
	v_lshlrev_b32_e32 v76, 26, v34
	v_cmp_ne_u32_e32 vcc_lo, 0, v40
	v_ashrrev_i32_e32 v78, 31, v78
	v_lshlrev_b32_e32 v77, 25, v34
	v_ashrrev_i32_e32 v37, 31, v37
	v_lshlrev_b32_e32 v40, 24, v34
	v_xor_b32_e32 v35, vcc_lo, v35
	v_cmp_gt_i32_e32 vcc_lo, 0, v38
	v_not_b32_e32 v38, v39
	v_xor_b32_e32 v78, s0, v78
	v_cmp_gt_i32_e64 s0, 0, v39
	v_and_b32_e32 v35, exec_lo, v35
	v_not_b32_e32 v39, v41
	v_ashrrev_i32_e32 v38, 31, v38
	v_xor_b32_e32 v37, vcc_lo, v37
	v_cmp_gt_i32_e32 vcc_lo, 0, v41
	v_and_b32_e32 v35, v35, v78
	v_not_b32_e32 v41, v76
	v_ashrrev_i32_e32 v39, 31, v39
	v_xor_b32_e32 v38, s0, v38
	v_cmp_gt_i32_e64 s0, 0, v76
	v_and_b32_e32 v35, v35, v37
	v_not_b32_e32 v37, v77
	v_ashrrev_i32_e32 v41, 31, v41
	v_xor_b32_e32 v39, vcc_lo, v39
	v_cmp_gt_i32_e32 vcc_lo, 0, v77
	v_and_b32_e32 v35, v35, v38
	v_not_b32_e32 v38, v40
	v_ashrrev_i32_e32 v37, 31, v37
	v_xor_b32_e32 v41, s0, v41
	v_lshl_add_u32 v34, v34, 3, v34
	v_and_b32_e32 v35, v35, v39
	v_cmp_gt_i32_e64 s0, 0, v40
	v_ashrrev_i32_e32 v38, 31, v38
	v_xor_b32_e32 v37, vcc_lo, v37
	v_add_lshl_u32 v78, v36, v34, 2
	v_and_b32_e32 v35, v35, v41
	s_delay_alu instid0(VALU_DEP_4) | instskip(SKIP_2) | instid1(VALU_DEP_1)
	v_xor_b32_e32 v34, s0, v38
	ds_load_b32 v76, v78 offset:32
	v_and_b32_e32 v35, v35, v37
	; wave barrier
	v_and_b32_e32 v34, v35, v34
	s_delay_alu instid0(VALU_DEP_1) | instskip(SKIP_1) | instid1(VALU_DEP_2)
	v_mbcnt_lo_u32_b32 v77, v34, 0
	v_cmp_ne_u32_e64 s0, 0, v34
	v_cmp_eq_u32_e32 vcc_lo, 0, v77
	s_delay_alu instid0(VALU_DEP_2) | instskip(NEXT) | instid1(SALU_CYCLE_1)
	s_and_b32 s4, s0, vcc_lo
	s_and_saveexec_b32 s0, s4
	s_cbranch_execz .LBB14_189
; %bb.188:
	s_waitcnt lgkmcnt(0)
	v_bcnt_u32_b32 v34, v34, v76
	ds_store_b32 v78, v34 offset:32
.LBB14_189:
	s_or_b32 exec_lo, exec_lo, s0
	v_xor_b32_e32 v21, 0x7fffffff, v21
	v_not_b32_e32 v20, v20
	; wave barrier
	s_delay_alu instid0(VALU_DEP_1) | instskip(NEXT) | instid1(VALU_DEP_1)
	v_lshrrev_b64 v[34:35], s48, v[20:21]
	v_and_b32_e32 v34, s1, v34
	s_delay_alu instid0(VALU_DEP_1)
	v_and_b32_e32 v35, 1, v34
	v_lshlrev_b32_e32 v37, 30, v34
	v_lshlrev_b32_e32 v38, 29, v34
	;; [unrolled: 1-line block ×4, first 2 shown]
	v_add_co_u32 v35, s0, v35, -1
	s_delay_alu instid0(VALU_DEP_1)
	v_cndmask_b32_e64 v40, 0, 1, s0
	v_not_b32_e32 v81, v37
	v_cmp_gt_i32_e64 s0, 0, v37
	v_not_b32_e32 v37, v38
	v_lshlrev_b32_e32 v79, 26, v34
	v_cmp_ne_u32_e32 vcc_lo, 0, v40
	v_ashrrev_i32_e32 v81, 31, v81
	v_lshlrev_b32_e32 v80, 25, v34
	v_ashrrev_i32_e32 v37, 31, v37
	v_lshlrev_b32_e32 v40, 24, v34
	v_xor_b32_e32 v35, vcc_lo, v35
	v_cmp_gt_i32_e32 vcc_lo, 0, v38
	v_not_b32_e32 v38, v39
	v_xor_b32_e32 v81, s0, v81
	v_cmp_gt_i32_e64 s0, 0, v39
	v_and_b32_e32 v35, exec_lo, v35
	v_not_b32_e32 v39, v41
	v_ashrrev_i32_e32 v38, 31, v38
	v_xor_b32_e32 v37, vcc_lo, v37
	v_cmp_gt_i32_e32 vcc_lo, 0, v41
	v_and_b32_e32 v35, v35, v81
	v_not_b32_e32 v41, v79
	v_ashrrev_i32_e32 v39, 31, v39
	v_xor_b32_e32 v38, s0, v38
	v_cmp_gt_i32_e64 s0, 0, v79
	v_and_b32_e32 v35, v35, v37
	v_not_b32_e32 v37, v80
	v_ashrrev_i32_e32 v41, 31, v41
	v_xor_b32_e32 v39, vcc_lo, v39
	v_cmp_gt_i32_e32 vcc_lo, 0, v80
	v_and_b32_e32 v35, v35, v38
	v_not_b32_e32 v38, v40
	v_ashrrev_i32_e32 v37, 31, v37
	v_xor_b32_e32 v41, s0, v41
	v_lshl_add_u32 v34, v34, 3, v34
	v_and_b32_e32 v35, v35, v39
	v_cmp_gt_i32_e64 s0, 0, v40
	v_ashrrev_i32_e32 v38, 31, v38
	v_xor_b32_e32 v37, vcc_lo, v37
	v_add_lshl_u32 v81, v36, v34, 2
	v_and_b32_e32 v35, v35, v41
	s_delay_alu instid0(VALU_DEP_4) | instskip(SKIP_2) | instid1(VALU_DEP_1)
	v_xor_b32_e32 v34, s0, v38
	ds_load_b32 v79, v81 offset:32
	v_and_b32_e32 v35, v35, v37
	; wave barrier
	v_and_b32_e32 v34, v35, v34
	s_delay_alu instid0(VALU_DEP_1) | instskip(SKIP_1) | instid1(VALU_DEP_2)
	v_mbcnt_lo_u32_b32 v80, v34, 0
	v_cmp_ne_u32_e64 s0, 0, v34
	v_cmp_eq_u32_e32 vcc_lo, 0, v80
	s_delay_alu instid0(VALU_DEP_2) | instskip(NEXT) | instid1(SALU_CYCLE_1)
	s_and_b32 s4, s0, vcc_lo
	s_and_saveexec_b32 s0, s4
	s_cbranch_execz .LBB14_191
; %bb.190:
	s_waitcnt lgkmcnt(0)
	v_bcnt_u32_b32 v34, v34, v79
	ds_store_b32 v81, v34 offset:32
.LBB14_191:
	s_or_b32 exec_lo, exec_lo, s0
	v_xor_b32_e32 v17, 0x7fffffff, v17
	v_not_b32_e32 v16, v16
	; wave barrier
	s_delay_alu instid0(VALU_DEP_1) | instskip(NEXT) | instid1(VALU_DEP_1)
	v_lshrrev_b64 v[34:35], s48, v[16:17]
	v_and_b32_e32 v34, s1, v34
	s_delay_alu instid0(VALU_DEP_1)
	v_and_b32_e32 v35, 1, v34
	v_lshlrev_b32_e32 v37, 30, v34
	v_lshlrev_b32_e32 v38, 29, v34
	;; [unrolled: 1-line block ×4, first 2 shown]
	v_add_co_u32 v35, s0, v35, -1
	s_delay_alu instid0(VALU_DEP_1)
	v_cndmask_b32_e64 v40, 0, 1, s0
	v_not_b32_e32 v84, v37
	v_cmp_gt_i32_e64 s0, 0, v37
	v_not_b32_e32 v37, v38
	v_lshlrev_b32_e32 v82, 26, v34
	v_cmp_ne_u32_e32 vcc_lo, 0, v40
	v_ashrrev_i32_e32 v84, 31, v84
	v_lshlrev_b32_e32 v83, 25, v34
	v_ashrrev_i32_e32 v37, 31, v37
	v_lshlrev_b32_e32 v40, 24, v34
	v_xor_b32_e32 v35, vcc_lo, v35
	v_cmp_gt_i32_e32 vcc_lo, 0, v38
	v_not_b32_e32 v38, v39
	v_xor_b32_e32 v84, s0, v84
	v_cmp_gt_i32_e64 s0, 0, v39
	v_and_b32_e32 v35, exec_lo, v35
	v_not_b32_e32 v39, v41
	v_ashrrev_i32_e32 v38, 31, v38
	v_xor_b32_e32 v37, vcc_lo, v37
	v_cmp_gt_i32_e32 vcc_lo, 0, v41
	v_and_b32_e32 v35, v35, v84
	v_not_b32_e32 v41, v82
	v_ashrrev_i32_e32 v39, 31, v39
	v_xor_b32_e32 v38, s0, v38
	v_cmp_gt_i32_e64 s0, 0, v82
	v_and_b32_e32 v35, v35, v37
	v_not_b32_e32 v37, v83
	v_ashrrev_i32_e32 v41, 31, v41
	v_xor_b32_e32 v39, vcc_lo, v39
	v_cmp_gt_i32_e32 vcc_lo, 0, v83
	v_and_b32_e32 v35, v35, v38
	v_not_b32_e32 v38, v40
	v_ashrrev_i32_e32 v37, 31, v37
	v_xor_b32_e32 v41, s0, v41
	v_lshl_add_u32 v34, v34, 3, v34
	v_and_b32_e32 v35, v35, v39
	v_cmp_gt_i32_e64 s0, 0, v40
	v_ashrrev_i32_e32 v38, 31, v38
	v_xor_b32_e32 v37, vcc_lo, v37
	v_add_lshl_u32 v84, v36, v34, 2
	v_and_b32_e32 v35, v35, v41
	s_delay_alu instid0(VALU_DEP_4) | instskip(SKIP_2) | instid1(VALU_DEP_1)
	v_xor_b32_e32 v34, s0, v38
	ds_load_b32 v82, v84 offset:32
	v_and_b32_e32 v35, v35, v37
	; wave barrier
	v_and_b32_e32 v34, v35, v34
	s_delay_alu instid0(VALU_DEP_1) | instskip(SKIP_1) | instid1(VALU_DEP_2)
	v_mbcnt_lo_u32_b32 v83, v34, 0
	v_cmp_ne_u32_e64 s0, 0, v34
	v_cmp_eq_u32_e32 vcc_lo, 0, v83
	s_delay_alu instid0(VALU_DEP_2) | instskip(NEXT) | instid1(SALU_CYCLE_1)
	s_and_b32 s4, s0, vcc_lo
	s_and_saveexec_b32 s0, s4
	s_cbranch_execz .LBB14_193
; %bb.192:
	s_waitcnt lgkmcnt(0)
	v_bcnt_u32_b32 v34, v34, v82
	ds_store_b32 v84, v34 offset:32
.LBB14_193:
	s_or_b32 exec_lo, exec_lo, s0
	v_xor_b32_e32 v13, 0x7fffffff, v13
	v_not_b32_e32 v12, v12
	; wave barrier
	s_delay_alu instid0(VALU_DEP_1) | instskip(NEXT) | instid1(VALU_DEP_1)
	v_lshrrev_b64 v[34:35], s48, v[12:13]
	v_and_b32_e32 v34, s1, v34
	s_delay_alu instid0(VALU_DEP_1)
	v_and_b32_e32 v35, 1, v34
	v_lshlrev_b32_e32 v37, 30, v34
	v_lshlrev_b32_e32 v38, 29, v34
	;; [unrolled: 1-line block ×4, first 2 shown]
	v_add_co_u32 v35, s0, v35, -1
	s_delay_alu instid0(VALU_DEP_1)
	v_cndmask_b32_e64 v40, 0, 1, s0
	v_not_b32_e32 v87, v37
	v_cmp_gt_i32_e64 s0, 0, v37
	v_not_b32_e32 v37, v38
	v_lshlrev_b32_e32 v85, 26, v34
	v_cmp_ne_u32_e32 vcc_lo, 0, v40
	v_ashrrev_i32_e32 v87, 31, v87
	v_lshlrev_b32_e32 v86, 25, v34
	v_ashrrev_i32_e32 v37, 31, v37
	v_lshlrev_b32_e32 v40, 24, v34
	v_xor_b32_e32 v35, vcc_lo, v35
	v_cmp_gt_i32_e32 vcc_lo, 0, v38
	v_not_b32_e32 v38, v39
	v_xor_b32_e32 v87, s0, v87
	v_cmp_gt_i32_e64 s0, 0, v39
	v_and_b32_e32 v35, exec_lo, v35
	v_not_b32_e32 v39, v41
	v_ashrrev_i32_e32 v38, 31, v38
	v_xor_b32_e32 v37, vcc_lo, v37
	v_cmp_gt_i32_e32 vcc_lo, 0, v41
	v_and_b32_e32 v35, v35, v87
	v_not_b32_e32 v41, v85
	v_ashrrev_i32_e32 v39, 31, v39
	v_xor_b32_e32 v38, s0, v38
	v_cmp_gt_i32_e64 s0, 0, v85
	v_and_b32_e32 v35, v35, v37
	v_not_b32_e32 v37, v86
	v_ashrrev_i32_e32 v41, 31, v41
	v_xor_b32_e32 v39, vcc_lo, v39
	v_cmp_gt_i32_e32 vcc_lo, 0, v86
	v_and_b32_e32 v35, v35, v38
	v_not_b32_e32 v38, v40
	v_ashrrev_i32_e32 v37, 31, v37
	v_xor_b32_e32 v41, s0, v41
	v_lshl_add_u32 v34, v34, 3, v34
	v_and_b32_e32 v35, v35, v39
	v_cmp_gt_i32_e64 s0, 0, v40
	v_ashrrev_i32_e32 v38, 31, v38
	v_xor_b32_e32 v37, vcc_lo, v37
	v_add_lshl_u32 v87, v36, v34, 2
	v_and_b32_e32 v35, v35, v41
	s_delay_alu instid0(VALU_DEP_4) | instskip(SKIP_2) | instid1(VALU_DEP_1)
	v_xor_b32_e32 v34, s0, v38
	ds_load_b32 v85, v87 offset:32
	v_and_b32_e32 v35, v35, v37
	; wave barrier
	v_and_b32_e32 v34, v35, v34
	s_delay_alu instid0(VALU_DEP_1) | instskip(SKIP_1) | instid1(VALU_DEP_2)
	v_mbcnt_lo_u32_b32 v86, v34, 0
	v_cmp_ne_u32_e64 s0, 0, v34
	v_cmp_eq_u32_e32 vcc_lo, 0, v86
	s_delay_alu instid0(VALU_DEP_2) | instskip(NEXT) | instid1(SALU_CYCLE_1)
	s_and_b32 s4, s0, vcc_lo
	s_and_saveexec_b32 s0, s4
	s_cbranch_execz .LBB14_195
; %bb.194:
	s_waitcnt lgkmcnt(0)
	v_bcnt_u32_b32 v34, v34, v85
	ds_store_b32 v87, v34 offset:32
.LBB14_195:
	s_or_b32 exec_lo, exec_lo, s0
	v_xor_b32_e32 v35, 0x7fffffff, v3
	v_not_b32_e32 v34, v2
	; wave barrier
	v_add_nc_u32_e32 v91, 32, v44
	s_delay_alu instid0(VALU_DEP_2) | instskip(NEXT) | instid1(VALU_DEP_1)
	v_lshrrev_b64 v[2:3], s48, v[34:35]
	v_and_b32_e32 v2, s1, v2
	s_delay_alu instid0(VALU_DEP_1)
	v_and_b32_e32 v3, 1, v2
	v_lshlrev_b32_e32 v37, 30, v2
	v_lshlrev_b32_e32 v38, 29, v2
	v_lshlrev_b32_e32 v39, 28, v2
	v_lshlrev_b32_e32 v41, 27, v2
	v_add_co_u32 v3, s0, v3, -1
	s_delay_alu instid0(VALU_DEP_1)
	v_cndmask_b32_e64 v40, 0, 1, s0
	v_not_b32_e32 v90, v37
	v_cmp_gt_i32_e64 s0, 0, v37
	v_not_b32_e32 v37, v38
	v_lshlrev_b32_e32 v88, 26, v2
	v_cmp_ne_u32_e32 vcc_lo, 0, v40
	v_ashrrev_i32_e32 v90, 31, v90
	v_lshlrev_b32_e32 v89, 25, v2
	v_ashrrev_i32_e32 v37, 31, v37
	v_lshlrev_b32_e32 v40, 24, v2
	v_xor_b32_e32 v3, vcc_lo, v3
	v_cmp_gt_i32_e32 vcc_lo, 0, v38
	v_not_b32_e32 v38, v39
	v_xor_b32_e32 v90, s0, v90
	v_cmp_gt_i32_e64 s0, 0, v39
	v_and_b32_e32 v3, exec_lo, v3
	v_not_b32_e32 v39, v41
	v_ashrrev_i32_e32 v38, 31, v38
	v_xor_b32_e32 v37, vcc_lo, v37
	v_cmp_gt_i32_e32 vcc_lo, 0, v41
	v_and_b32_e32 v3, v3, v90
	v_not_b32_e32 v41, v88
	v_ashrrev_i32_e32 v39, 31, v39
	v_xor_b32_e32 v38, s0, v38
	v_cmp_gt_i32_e64 s0, 0, v88
	v_and_b32_e32 v3, v3, v37
	v_not_b32_e32 v37, v89
	v_ashrrev_i32_e32 v41, 31, v41
	v_xor_b32_e32 v39, vcc_lo, v39
	v_cmp_gt_i32_e32 vcc_lo, 0, v89
	v_and_b32_e32 v3, v3, v38
	v_not_b32_e32 v38, v40
	v_ashrrev_i32_e32 v37, 31, v37
	v_xor_b32_e32 v41, s0, v41
	v_lshl_add_u32 v2, v2, 3, v2
	v_and_b32_e32 v3, v3, v39
	v_cmp_gt_i32_e64 s0, 0, v40
	v_ashrrev_i32_e32 v38, 31, v38
	v_xor_b32_e32 v37, vcc_lo, v37
	v_add_lshl_u32 v90, v36, v2, 2
	v_and_b32_e32 v3, v3, v41
	s_delay_alu instid0(VALU_DEP_4) | instskip(SKIP_2) | instid1(VALU_DEP_1)
	v_xor_b32_e32 v2, s0, v38
	ds_load_b32 v88, v90 offset:32
	v_and_b32_e32 v3, v3, v37
	; wave barrier
	v_and_b32_e32 v2, v3, v2
	s_delay_alu instid0(VALU_DEP_1) | instskip(SKIP_1) | instid1(VALU_DEP_2)
	v_mbcnt_lo_u32_b32 v89, v2, 0
	v_cmp_ne_u32_e64 s0, 0, v2
	v_cmp_eq_u32_e32 vcc_lo, 0, v89
	s_delay_alu instid0(VALU_DEP_2) | instskip(NEXT) | instid1(SALU_CYCLE_1)
	s_and_b32 s4, s0, vcc_lo
	s_and_saveexec_b32 s0, s4
	s_cbranch_execz .LBB14_197
; %bb.196:
	s_waitcnt lgkmcnt(0)
	v_bcnt_u32_b32 v2, v2, v88
	ds_store_b32 v90, v2 offset:32
.LBB14_197:
	s_or_b32 exec_lo, exec_lo, s0
	; wave barrier
	s_waitcnt lgkmcnt(0)
	s_barrier
	buffer_gl0_inv
	ds_load_2addr_b32 v[40:41], v44 offset0:8 offset1:9
	ds_load_2addr_b32 v[38:39], v91 offset0:2 offset1:3
	;; [unrolled: 1-line block ×4, first 2 shown]
	ds_load_b32 v92, v91 offset:32
	v_bfe_i32 v95, v42, 4, 1
	s_mov_b32 s0, exec_lo
	s_waitcnt lgkmcnt(3)
	v_add3_u32 v93, v41, v40, v38
	s_waitcnt lgkmcnt(2)
	s_delay_alu instid0(VALU_DEP_1) | instskip(SKIP_1) | instid1(VALU_DEP_1)
	v_add3_u32 v93, v93, v39, v36
	s_waitcnt lgkmcnt(1)
	v_add3_u32 v93, v93, v37, v2
	s_waitcnt lgkmcnt(0)
	s_delay_alu instid0(VALU_DEP_1) | instskip(SKIP_1) | instid1(VALU_DEP_2)
	v_add3_u32 v92, v93, v3, v92
	v_and_b32_e32 v93, 15, v42
	v_mov_b32_dpp v94, v92 row_shr:1 row_mask:0xf bank_mask:0xf
	s_delay_alu instid0(VALU_DEP_2) | instskip(NEXT) | instid1(VALU_DEP_2)
	v_cmp_ne_u32_e32 vcc_lo, 0, v93
	v_cndmask_b32_e32 v94, 0, v94, vcc_lo
	v_cmp_lt_u32_e32 vcc_lo, 1, v93
	s_delay_alu instid0(VALU_DEP_2) | instskip(NEXT) | instid1(VALU_DEP_1)
	v_add_nc_u32_e32 v92, v94, v92
	v_mov_b32_dpp v94, v92 row_shr:2 row_mask:0xf bank_mask:0xf
	s_delay_alu instid0(VALU_DEP_1) | instskip(SKIP_1) | instid1(VALU_DEP_2)
	v_cndmask_b32_e32 v94, 0, v94, vcc_lo
	v_cmp_lt_u32_e32 vcc_lo, 3, v93
	v_add_nc_u32_e32 v92, v92, v94
	s_delay_alu instid0(VALU_DEP_1) | instskip(NEXT) | instid1(VALU_DEP_1)
	v_mov_b32_dpp v94, v92 row_shr:4 row_mask:0xf bank_mask:0xf
	v_cndmask_b32_e32 v94, 0, v94, vcc_lo
	v_cmp_lt_u32_e32 vcc_lo, 7, v93
	s_delay_alu instid0(VALU_DEP_2) | instskip(NEXT) | instid1(VALU_DEP_1)
	v_add_nc_u32_e32 v92, v92, v94
	v_mov_b32_dpp v94, v92 row_shr:8 row_mask:0xf bank_mask:0xf
	s_delay_alu instid0(VALU_DEP_1) | instskip(NEXT) | instid1(VALU_DEP_1)
	v_dual_cndmask_b32 v93, 0, v94 :: v_dual_and_b32 v94, 0x3e0, v1
	v_add_nc_u32_e32 v92, v92, v93
	s_delay_alu instid0(VALU_DEP_2)
	v_min_u32_e32 v94, 0xe0, v94
	ds_swizzle_b32 v93, v92 offset:swizzle(BROADCAST,32,15)
	v_or_b32_e32 v94, 31, v94
	s_waitcnt lgkmcnt(0)
	v_and_b32_e32 v95, v95, v93
	v_lshrrev_b32_e32 v93, 5, v1
	s_delay_alu instid0(VALU_DEP_2)
	v_add_nc_u32_e32 v92, v92, v95
	v_cmpx_eq_u32_e64 v94, v1
	s_cbranch_execz .LBB14_199
; %bb.198:
	s_delay_alu instid0(VALU_DEP_3)
	v_lshlrev_b32_e32 v94, 2, v93
	ds_store_b32 v94, v92
.LBB14_199:
	s_or_b32 exec_lo, exec_lo, s0
	s_delay_alu instid0(SALU_CYCLE_1)
	s_mov_b32 s0, exec_lo
	s_waitcnt lgkmcnt(0)
	s_barrier
	buffer_gl0_inv
	v_cmpx_gt_u32_e32 8, v1
	s_cbranch_execz .LBB14_201
; %bb.200:
	v_lshlrev_b32_e32 v94, 2, v1
	ds_load_b32 v95, v94
	s_waitcnt lgkmcnt(0)
	v_mov_b32_dpp v97, v95 row_shr:1 row_mask:0xf bank_mask:0xf
	v_and_b32_e32 v96, 7, v42
	s_delay_alu instid0(VALU_DEP_1) | instskip(NEXT) | instid1(VALU_DEP_3)
	v_cmp_ne_u32_e32 vcc_lo, 0, v96
	v_cndmask_b32_e32 v97, 0, v97, vcc_lo
	v_cmp_lt_u32_e32 vcc_lo, 1, v96
	s_delay_alu instid0(VALU_DEP_2) | instskip(NEXT) | instid1(VALU_DEP_1)
	v_add_nc_u32_e32 v95, v97, v95
	v_mov_b32_dpp v97, v95 row_shr:2 row_mask:0xf bank_mask:0xf
	s_delay_alu instid0(VALU_DEP_1) | instskip(SKIP_1) | instid1(VALU_DEP_2)
	v_cndmask_b32_e32 v97, 0, v97, vcc_lo
	v_cmp_lt_u32_e32 vcc_lo, 3, v96
	v_add_nc_u32_e32 v95, v95, v97
	s_delay_alu instid0(VALU_DEP_1) | instskip(NEXT) | instid1(VALU_DEP_1)
	v_mov_b32_dpp v97, v95 row_shr:4 row_mask:0xf bank_mask:0xf
	v_cndmask_b32_e32 v96, 0, v97, vcc_lo
	s_delay_alu instid0(VALU_DEP_1)
	v_add_nc_u32_e32 v95, v95, v96
	ds_store_b32 v94, v95
.LBB14_201:
	s_or_b32 exec_lo, exec_lo, s0
	v_mov_b32_e32 v94, 0
	s_mov_b32 s0, exec_lo
	s_waitcnt lgkmcnt(0)
	s_barrier
	buffer_gl0_inv
	v_cmpx_lt_u32_e32 31, v1
	s_cbranch_execz .LBB14_203
; %bb.202:
	v_lshl_add_u32 v93, v93, 2, -4
	ds_load_b32 v94, v93
.LBB14_203:
	s_or_b32 exec_lo, exec_lo, s0
	v_add_nc_u32_e32 v93, -1, v42
	s_mov_b32 s0, 0
	s_mov_b32 s4, exec_lo
	s_waitcnt lgkmcnt(0)
	v_add_nc_u32_e32 v92, v94, v92
	v_cmp_gt_i32_e32 vcc_lo, 0, v93
	v_cndmask_b32_e32 v93, v93, v42, vcc_lo
	v_cmp_eq_u32_e32 vcc_lo, 0, v42
	s_delay_alu instid0(VALU_DEP_2) | instskip(SKIP_4) | instid1(VALU_DEP_2)
	v_lshlrev_b32_e32 v93, 2, v93
	ds_bpermute_b32 v92, v93, v92
	s_waitcnt lgkmcnt(0)
	v_cndmask_b32_e32 v92, v92, v94, vcc_lo
	v_cmp_ne_u32_e32 vcc_lo, 0, v1
	v_cndmask_b32_e32 v92, 0, v92, vcc_lo
	s_delay_alu instid0(VALU_DEP_1) | instskip(NEXT) | instid1(VALU_DEP_1)
	v_add_nc_u32_e32 v40, v92, v40
	v_add_nc_u32_e32 v41, v40, v41
	s_delay_alu instid0(VALU_DEP_1) | instskip(NEXT) | instid1(VALU_DEP_1)
	v_add_nc_u32_e32 v38, v41, v38
	v_add_nc_u32_e32 v39, v38, v39
	;; [unrolled: 3-line block ×4, first 2 shown]
	ds_store_2addr_b32 v44, v92, v40 offset0:8 offset1:9
	ds_store_2addr_b32 v91, v41, v38 offset0:2 offset1:3
	;; [unrolled: 1-line block ×4, first 2 shown]
	ds_store_b32 v91, v3 offset:32
	v_mov_b32_e32 v2, 0x1000
	s_waitcnt lgkmcnt(0)
	s_barrier
	buffer_gl0_inv
	ds_load_b32 v36, v48 offset:32
	ds_load_b32 v37, v51 offset:32
	;; [unrolled: 1-line block ×17, first 2 shown]
	v_add_nc_u32_e32 v44, 1, v1
	s_delay_alu instid0(VALU_DEP_1)
	v_cmpx_ne_u32_e32 0x100, v44
	s_cbranch_execz .LBB14_205
; %bb.204:
	v_mul_u32_u24_e32 v2, 9, v44
	s_delay_alu instid0(VALU_DEP_1)
	v_lshlrev_b32_e32 v2, 2, v2
	ds_load_b32 v2, v2 offset:32
.LBB14_205:
	s_or_b32 exec_lo, exec_lo, s4
	s_waitcnt lgkmcnt(1)
	v_add_nc_u32_e32 v0, v45, v0
	v_add3_u32 v36, v47, v46, v36
	v_add3_u32 v37, v50, v49, v37
	;; [unrolled: 1-line block ×4, first 2 shown]
	v_lshlrev_b32_e32 v53, 3, v0
	v_lshlrev_b32_e32 v54, 3, v36
	v_add3_u32 v39, v56, v55, v39
	v_add3_u32 v40, v59, v58, v40
	;; [unrolled: 1-line block ×4, first 2 shown]
	s_waitcnt lgkmcnt(0)
	s_barrier
	buffer_gl0_inv
	ds_store_b64 v53, v[4:5] offset:2048
	ds_store_b64 v54, v[6:7] offset:2048
	v_lshlrev_b32_e32 v4, 3, v37
	v_add3_u32 v45, v68, v67, v51
	v_lshlrev_b32_e32 v5, 3, v38
	v_lshlrev_b32_e32 v6, 3, v39
	v_add3_u32 v47, v74, v73, v57
	v_lshlrev_b32_e32 v7, 3, v40
	v_add3_u32 v48, v77, v76, v60
	;; [unrolled: 2-line block ×3, first 2 shown]
	ds_store_b64 v4, v[8:9] offset:2048
	ds_store_b64 v5, v[10:11] offset:2048
	;; [unrolled: 1-line block ×5, first 2 shown]
	v_lshlrev_b32_e32 v4, 3, v44
	v_lshlrev_b32_e32 v5, 3, v45
	;; [unrolled: 1-line block ×3, first 2 shown]
	v_add3_u32 v50, v83, v82, v66
	v_lshlrev_b32_e32 v7, 3, v47
	v_add3_u32 v51, v86, v85, v69
	v_lshlrev_b32_e32 v8, 3, v48
	v_add3_u32 v52, v89, v88, v72
	ds_store_b64 v4, v[26:27] offset:2048
	ds_store_b64 v5, v[30:31] offset:2048
	;; [unrolled: 1-line block ×5, first 2 shown]
	v_lshlrev_b32_e32 v6, 3, v49
	v_lshl_add_u32 v4, s15, 8, v1
	v_dual_mov_b32 v5, 0 :: v_dual_lshlrev_b32 v8, 3, v50
	v_lshlrev_b32_e32 v9, 3, v51
	v_lshlrev_b32_e32 v10, 3, v52
	ds_store_b64 v6, v[20:21] offset:2048
	v_lshlrev_b64 v[6:7], 2, v[4:5]
	ds_store_b64 v8, v[16:17] offset:2048
	ds_store_b64 v9, v[12:13] offset:2048
	ds_store_b64 v10, v[34:35] offset:2048
	v_sub_nc_u32_e32 v10, v2, v3
	v_mov_b32_e32 v2, 0
	s_waitcnt lgkmcnt(0)
	s_barrier
	v_add_co_u32 v6, vcc_lo, s52, v6
	v_add_co_ci_u32_e32 v7, vcc_lo, s53, v7, vcc_lo
	v_or_b32_e32 v4, 2.0, v10
	buffer_gl0_inv
                                        ; implicit-def: $sgpr4
	global_store_b32 v[6:7], v4, off
	s_branch .LBB14_208
	.p2align	6
.LBB14_206:                             ;   in Loop: Header=BB14_208 Depth=1
	s_or_b32 exec_lo, exec_lo, s5
.LBB14_207:                             ;   in Loop: Header=BB14_208 Depth=1
	s_delay_alu instid0(SALU_CYCLE_1) | instskip(SKIP_2) | instid1(VALU_DEP_2)
	s_or_b32 exec_lo, exec_lo, s4
	v_and_b32_e32 v8, 0x3fffffff, v11
	v_cmp_eq_u32_e64 s4, 0x80000000, v4
	v_add_nc_u32_e32 v2, v8, v2
	s_delay_alu instid0(VALU_DEP_2) | instskip(NEXT) | instid1(SALU_CYCLE_1)
	s_and_b32 s5, exec_lo, s4
	s_or_b32 s0, s5, s0
	s_delay_alu instid0(SALU_CYCLE_1)
	s_and_not1_b32 exec_lo, exec_lo, s0
	s_cbranch_execz .LBB14_213
.LBB14_208:                             ; =>This Loop Header: Depth=1
                                        ;     Child Loop BB14_211 Depth 2
	s_or_b32 s4, s4, exec_lo
	s_cmp_eq_u32 s54, 0
	s_cbranch_scc1 .LBB14_212
; %bb.209:                              ;   in Loop: Header=BB14_208 Depth=1
	s_add_i32 s54, s54, -1
	s_mov_b32 s4, exec_lo
	v_lshl_add_u32 v4, s54, 8, v1
	s_delay_alu instid0(VALU_DEP_1) | instskip(NEXT) | instid1(VALU_DEP_1)
	v_lshlrev_b64 v[8:9], 2, v[4:5]
	v_add_co_u32 v8, vcc_lo, s52, v8
	s_delay_alu instid0(VALU_DEP_2) | instskip(SKIP_3) | instid1(VALU_DEP_1)
	v_add_co_ci_u32_e32 v9, vcc_lo, s53, v9, vcc_lo
	global_load_b32 v11, v[8:9], off glc
	s_waitcnt vmcnt(0)
	v_and_b32_e32 v4, -2.0, v11
	v_cmpx_eq_u32_e32 0, v4
	s_cbranch_execz .LBB14_207
; %bb.210:                              ;   in Loop: Header=BB14_208 Depth=1
	s_mov_b32 s5, 0
.LBB14_211:                             ;   Parent Loop BB14_208 Depth=1
                                        ; =>  This Inner Loop Header: Depth=2
	global_load_b32 v11, v[8:9], off glc
	s_waitcnt vmcnt(0)
	v_and_b32_e32 v4, -2.0, v11
	s_delay_alu instid0(VALU_DEP_1) | instskip(SKIP_1) | instid1(SALU_CYCLE_1)
	v_cmp_ne_u32_e32 vcc_lo, 0, v4
	s_or_b32 s5, vcc_lo, s5
	s_and_not1_b32 exec_lo, exec_lo, s5
	s_cbranch_execnz .LBB14_211
	s_branch .LBB14_206
.LBB14_212:                             ;   in Loop: Header=BB14_208 Depth=1
                                        ; implicit-def: $sgpr54
	s_and_b32 s5, exec_lo, s4
	s_delay_alu instid0(SALU_CYCLE_1) | instskip(NEXT) | instid1(SALU_CYCLE_1)
	s_or_b32 s0, s5, s0
	s_and_not1_b32 exec_lo, exec_lo, s0
	s_cbranch_execnz .LBB14_208
.LBB14_213:
	s_or_b32 exec_lo, exec_lo, s0
	v_add_nc_u32_e32 v4, v2, v10
	v_lshlrev_b32_e32 v8, 3, v1
	v_sub_co_u32 v2, s0, v2, v3
	s_delay_alu instid0(VALU_DEP_3) | instskip(NEXT) | instid1(VALU_DEP_3)
	v_or_b32_e32 v4, 0x80000000, v4
	v_add_nc_u32_e32 v35, 0x1000, v8
	v_add_nc_u32_e32 v89, 0x1800, v8
	;; [unrolled: 1-line block ×4, first 2 shown]
	global_store_b32 v[6:7], v4, off
	global_load_b64 v[4:5], v8, s[44:45]
	v_sub_co_ci_u32_e64 v6, null, 0, 0, s0
	s_add_u32 s0, s40, s2
	s_addc_u32 s2, s41, 0
	v_add_co_u32 v9, s0, s0, v42
	s_delay_alu instid0(VALU_DEP_1)
	v_add_co_ci_u32_e64 v19, null, s2, 0, s0
	v_add_nc_u32_e32 v92, 0x3800, v8
	v_or_b32_e32 v93, 0x4000, v8
	v_add_nc_u32_e32 v94, 0x4800, v8
	v_add_nc_u32_e32 v95, 0x5000, v8
	;; [unrolled: 1-line block ×3, first 2 shown]
	v_or_b32_e32 v97, 0x6000, v8
	v_add_nc_u32_e32 v98, 0x6800, v8
	v_add_nc_u32_e32 v99, 0x7000, v8
	;; [unrolled: 1-line block ×3, first 2 shown]
	s_add_i32 s3, s3, -1
	s_delay_alu instid0(SALU_CYCLE_1)
	s_cmp_eq_u32 s15, s3
	s_cselect_b32 s2, -1, 0
	s_waitcnt vmcnt(0)
	v_add_co_u32 v4, vcc_lo, v2, v4
	v_add_co_ci_u32_e32 v5, vcc_lo, v6, v5, vcc_lo
	v_add_co_u32 v42, vcc_lo, v9, v43
	v_add_co_ci_u32_e32 v43, vcc_lo, 0, v19, vcc_lo
	ds_store_b64 v8, v[4:5]
	s_waitcnt lgkmcnt(0)
	s_waitcnt_vscnt null, 0x0
	s_barrier
	buffer_gl0_inv
	ds_load_2addr_stride64_b64 v[4:7], v8 offset0:4 offset1:8
	ds_load_2addr_stride64_b64 v[11:14], v8 offset0:12 offset1:16
	;; [unrolled: 1-line block ×8, first 2 shown]
	v_or_b32_e32 v2, 0x2000, v8
	s_waitcnt lgkmcnt(7)
	v_lshrrev_b64 v[57:58], s48, v[4:5]
	v_lshrrev_b64 v[58:59], s48, v[6:7]
	s_waitcnt lgkmcnt(6)
	v_lshrrev_b64 v[59:60], s48, v[11:12]
	v_lshrrev_b64 v[60:61], s48, v[13:14]
	;; [unrolled: 3-line block ×8, first 2 shown]
	v_and_b32_e32 v9, s1, v57
	v_and_b32_e32 v57, s1, v58
	;; [unrolled: 1-line block ×16, first 2 shown]
	v_lshlrev_b32_e32 v9, 3, v9
	v_lshlrev_b32_e32 v101, 3, v57
	;; [unrolled: 1-line block ×16, first 2 shown]
	ds_load_b64 v[57:58], v9
	ds_load_b64 v[59:60], v101
	;; [unrolled: 1-line block ×16, first 2 shown]
	v_xor_b32_e32 v5, 0x7fffffff, v5
	v_xor_b32_e32 v4, -1, v4
	v_xor_b32_e32 v7, 0x7fffffff, v7
	v_xor_b32_e32 v6, -1, v6
	s_waitcnt lgkmcnt(15)
	v_lshlrev_b64 v[57:58], 3, v[57:58]
	s_waitcnt lgkmcnt(14)
	v_lshlrev_b64 v[59:60], 3, v[59:60]
	;; [unrolled: 2-line block ×6, first 2 shown]
	v_add_co_u32 v57, vcc_lo, s38, v57
	v_add_co_ci_u32_e32 v58, vcc_lo, s39, v58, vcc_lo
	v_add_co_u32 v59, vcc_lo, s38, v59
	v_add_co_ci_u32_e32 v60, vcc_lo, s39, v60, vcc_lo
	;; [unrolled: 2-line block ×4, first 2 shown]
	s_waitcnt lgkmcnt(9)
	v_lshlrev_b64 v[69:70], 3, v[69:70]
	v_add_co_u32 v65, vcc_lo, s38, v65
	v_add_co_ci_u32_e32 v66, vcc_lo, s39, v66, vcc_lo
	s_waitcnt lgkmcnt(8)
	v_lshlrev_b64 v[71:72], 3, v[71:72]
	v_add_co_u32 v67, vcc_lo, s38, v67
	v_add_co_ci_u32_e32 v68, vcc_lo, s39, v68, vcc_lo
	;; [unrolled: 4-line block ×10, first 2 shown]
	v_add_co_u32 v85, vcc_lo, s38, v85
	v_add_co_ci_u32_e32 v86, vcc_lo, s39, v86, vcc_lo
	v_add_co_u32 v87, vcc_lo, s38, v87
	v_add_co_ci_u32_e32 v88, vcc_lo, s39, v88, vcc_lo
	;; [unrolled: 2-line block ×16, first 2 shown]
	v_add_co_u32 v85, vcc_lo, v85, v99
	v_xor_b32_e32 v12, 0x7fffffff, v12
	v_xor_b32_e32 v11, -1, v11
	v_add_co_ci_u32_e32 v86, vcc_lo, 0, v86, vcc_lo
	v_xor_b32_e32 v14, 0x7fffffff, v14
	v_xor_b32_e32 v13, -1, v13
	v_add_co_u32 v87, vcc_lo, v87, v100
	v_xor_b32_e32 v16, 0x7fffffff, v16
	v_xor_b32_e32 v15, -1, v15
	v_xor_b32_e32 v18, 0x7fffffff, v18
	v_xor_b32_e32 v17, -1, v17
	;; [unrolled: 2-line block ×12, first 2 shown]
	v_add_co_ci_u32_e32 v88, vcc_lo, 0, v88, vcc_lo
	s_clause 0xf
	global_store_b64 v[57:58], v[4:5], off
	global_store_b64 v[59:60], v[6:7], off offset:2048
	global_store_b64 v[61:62], v[11:12], off
	global_store_b64 v[63:64], v[13:14], off
	;; [unrolled: 1-line block ×14, first 2 shown]
	s_clause 0xf
	global_load_u8 v5, v[42:43], off
	global_load_u8 v6, v[42:43], off offset:32
	global_load_u8 v7, v[42:43], off offset:64
	global_load_u8 v11, v[42:43], off offset:96
	global_load_u8 v12, v[42:43], off offset:128
	global_load_u8 v13, v[42:43], off offset:160
	global_load_u8 v14, v[42:43], off offset:192
	global_load_u8 v15, v[42:43], off offset:224
	global_load_u8 v16, v[42:43], off offset:256
	global_load_u8 v17, v[42:43], off offset:288
	global_load_u8 v18, v[42:43], off offset:320
	global_load_u8 v19, v[42:43], off offset:352
	global_load_u8 v20, v[42:43], off offset:384
	global_load_u8 v21, v[42:43], off offset:416
	global_load_u8 v22, v[42:43], off offset:448
	global_load_u8 v23, v[42:43], off offset:480
	s_waitcnt vmcnt(0)
	s_waitcnt_vscnt null, 0x0
	s_barrier
	buffer_gl0_inv
	v_mov_b32_e32 v2, 0
	ds_store_b8 v0, v5 offset:2048
	ds_store_b8 v36, v6 offset:2048
	;; [unrolled: 1-line block ×16, first 2 shown]
	v_mov_b32_e32 v4, v2
	s_waitcnt lgkmcnt(0)
	s_barrier
	buffer_gl0_inv
	ds_load_b64 v[5:6], v9
	ds_load_b64 v[11:12], v101
	;; [unrolled: 1-line block ×4, first 2 shown]
	ds_load_u8 v0, v1 offset:2048
	ds_load_u8 v7, v1 offset:2304
	;; [unrolled: 1-line block ×8, first 2 shown]
	ds_load_b64 v[17:18], v104
	ds_load_b64 v[19:20], v105
	;; [unrolled: 1-line block ×8, first 2 shown]
	ds_load_u8 v46, v1 offset:4096
	ds_load_u8 v47, v1 offset:4352
	;; [unrolled: 1-line block ×8, first 2 shown]
	ds_load_b64 v[33:34], v112
	ds_load_b64 v[35:36], v113
	;; [unrolled: 1-line block ×4, first 2 shown]
	s_waitcnt lgkmcnt(31)
	v_add_co_u32 v5, vcc_lo, s42, v5
	v_add_co_ci_u32_e32 v6, vcc_lo, s43, v6, vcc_lo
	s_waitcnt lgkmcnt(30)
	v_add_co_u32 v11, vcc_lo, s42, v11
	v_add_co_ci_u32_e32 v12, vcc_lo, s43, v12, vcc_lo
	;; [unrolled: 3-line block ×16, first 2 shown]
	v_add_co_u32 v5, vcc_lo, v5, v1
	v_add_co_ci_u32_e32 v6, vcc_lo, 0, v6, vcc_lo
	v_add_co_u32 v11, vcc_lo, v11, v1
	v_add_co_ci_u32_e32 v12, vcc_lo, 0, v12, vcc_lo
	;; [unrolled: 2-line block ×16, first 2 shown]
	s_clause 0xf
	global_store_b8 v[5:6], v0, off
	global_store_b8 v[11:12], v7, off offset:256
	global_store_b8 v[13:14], v9, off offset:512
	;; [unrolled: 1-line block ×15, first 2 shown]
.LBB14_214:
	s_and_b32 vcc_lo, exec_lo, s2
	s_cbranch_vccnz .LBB14_216
; %bb.215:
	s_nop 0
	s_sendmsg sendmsg(MSG_DEALLOC_VGPRS)
	s_endpgm
.LBB14_216:
	ds_load_b64 v[5:6], v8
	v_lshlrev_b64 v[0:1], 3, v[1:2]
	v_add_co_u32 v2, vcc_lo, v3, v10
	v_add_co_ci_u32_e32 v3, vcc_lo, 0, v4, vcc_lo
	s_delay_alu instid0(VALU_DEP_3) | instskip(NEXT) | instid1(VALU_DEP_4)
	v_add_co_u32 v0, vcc_lo, s46, v0
	v_add_co_ci_u32_e32 v1, vcc_lo, s47, v1, vcc_lo
	s_waitcnt lgkmcnt(0)
	v_add_co_u32 v2, vcc_lo, v2, v5
	v_add_co_ci_u32_e32 v3, vcc_lo, v3, v6, vcc_lo
	global_store_b64 v[0:1], v[2:3], off
	s_nop 0
	s_sendmsg sendmsg(MSG_DEALLOC_VGPRS)
	s_endpgm
.LBB14_217:
	global_load_u8 v7, v[5:6], off
	s_or_b32 exec_lo, exec_lo, s35
                                        ; implicit-def: $vgpr9
	s_and_saveexec_b32 s35, s2
	s_cbranch_execz .LBB14_115
.LBB14_218:
	global_load_u8 v9, v[5:6], off offset:32
	s_or_b32 exec_lo, exec_lo, s35
                                        ; implicit-def: $vgpr11
	s_and_saveexec_b32 s2, s3
	s_cbranch_execz .LBB14_116
.LBB14_219:
	global_load_u8 v11, v[5:6], off offset:64
	s_or_b32 exec_lo, exec_lo, s2
                                        ; implicit-def: $vgpr12
	s_and_saveexec_b32 s2, s4
	s_cbranch_execz .LBB14_117
.LBB14_220:
	global_load_u8 v12, v[5:6], off offset:96
	s_or_b32 exec_lo, exec_lo, s2
                                        ; implicit-def: $vgpr13
	s_and_saveexec_b32 s2, s5
	s_cbranch_execz .LBB14_118
.LBB14_221:
	global_load_u8 v13, v[5:6], off offset:128
	s_or_b32 exec_lo, exec_lo, s2
                                        ; implicit-def: $vgpr14
	s_and_saveexec_b32 s2, s6
	s_cbranch_execz .LBB14_119
.LBB14_222:
	global_load_u8 v14, v[5:6], off offset:160
	s_or_b32 exec_lo, exec_lo, s2
                                        ; implicit-def: $vgpr15
	s_and_saveexec_b32 s2, s7
	s_cbranch_execz .LBB14_120
.LBB14_223:
	global_load_u8 v15, v[5:6], off offset:192
	s_or_b32 exec_lo, exec_lo, s2
                                        ; implicit-def: $vgpr16
	s_and_saveexec_b32 s2, s8
	s_cbranch_execz .LBB14_121
.LBB14_224:
	global_load_u8 v16, v[5:6], off offset:224
	s_or_b32 exec_lo, exec_lo, s2
                                        ; implicit-def: $vgpr17
	s_and_saveexec_b32 s2, s9
	s_cbranch_execz .LBB14_122
.LBB14_225:
	global_load_u8 v17, v[5:6], off offset:256
	s_or_b32 exec_lo, exec_lo, s2
                                        ; implicit-def: $vgpr18
	s_and_saveexec_b32 s2, s10
	s_cbranch_execz .LBB14_123
.LBB14_226:
	global_load_u8 v18, v[5:6], off offset:288
	s_or_b32 exec_lo, exec_lo, s2
                                        ; implicit-def: $vgpr19
	s_and_saveexec_b32 s2, s11
	s_cbranch_execz .LBB14_124
.LBB14_227:
	global_load_u8 v19, v[5:6], off offset:320
	s_or_b32 exec_lo, exec_lo, s2
                                        ; implicit-def: $vgpr22
	s_and_saveexec_b32 s2, s12
	s_cbranch_execz .LBB14_125
.LBB14_228:
	global_load_u8 v22, v[5:6], off offset:352
	s_or_b32 exec_lo, exec_lo, s2
                                        ; implicit-def: $vgpr25
	s_and_saveexec_b32 s2, s13
	s_cbranch_execz .LBB14_126
.LBB14_229:
	global_load_u8 v25, v[5:6], off offset:384
	s_or_b32 exec_lo, exec_lo, s2
                                        ; implicit-def: $vgpr29
	s_and_saveexec_b32 s2, s14
	s_cbranch_execz .LBB14_127
.LBB14_230:
	global_load_u8 v29, v[5:6], off offset:416
	s_or_b32 exec_lo, exec_lo, s2
                                        ; implicit-def: $vgpr33
	s_and_saveexec_b32 s2, s16
	s_cbranch_execz .LBB14_128
.LBB14_231:
	global_load_u8 v33, v[5:6], off offset:448
	s_or_b32 exec_lo, exec_lo, s2
                                        ; implicit-def: $vgpr54
	s_and_saveexec_b32 s2, s17
	s_cbranch_execz .LBB14_129
.LBB14_232:
	global_load_u8 v54, v[5:6], off offset:480
	s_or_b32 exec_lo, exec_lo, s2
                                        ; implicit-def: $vgpr55
	s_and_saveexec_b32 s2, s18
	s_cbranch_execz .LBB14_130
.LBB14_233:
	ds_load_b64 v[5:6], v8 offset:2048
	s_waitcnt lgkmcnt(0)
	v_lshrrev_b64 v[5:6], s48, v[5:6]
	s_delay_alu instid0(VALU_DEP_1)
	v_and_b32_e32 v55, s55, v5
	s_or_b32 exec_lo, exec_lo, s2
                                        ; implicit-def: $vgpr43
	s_and_saveexec_b32 s2, s19
	s_cbranch_execz .LBB14_131
.LBB14_234:
	v_lshlrev_b32_e32 v5, 3, v1
	ds_load_b64 v[5:6], v5 offset:4096
	s_waitcnt lgkmcnt(0)
	v_lshrrev_b64 v[5:6], s48, v[5:6]
	s_delay_alu instid0(VALU_DEP_1)
	v_and_b32_e32 v43, s55, v5
	s_or_b32 exec_lo, exec_lo, s2
                                        ; implicit-def: $vgpr35
	s_and_saveexec_b32 s2, s20
	s_cbranch_execz .LBB14_132
.LBB14_235:
	v_lshlrev_b32_e32 v5, 3, v1
	ds_load_b64 v[5:6], v5 offset:6144
	s_waitcnt lgkmcnt(0)
	v_lshrrev_b64 v[5:6], s48, v[5:6]
	s_delay_alu instid0(VALU_DEP_1)
	v_and_b32_e32 v35, s55, v5
	s_or_b32 exec_lo, exec_lo, s2
                                        ; implicit-def: $vgpr34
	s_and_saveexec_b32 s2, s21
	s_cbranch_execz .LBB14_133
.LBB14_236:
	v_lshlrev_b32_e32 v5, 3, v1
	ds_load_b64 v[5:6], v5 offset:8192
	s_waitcnt lgkmcnt(0)
	v_lshrrev_b64 v[5:6], s48, v[5:6]
	s_delay_alu instid0(VALU_DEP_1)
	v_and_b32_e32 v34, s55, v5
	s_or_b32 exec_lo, exec_lo, s2
                                        ; implicit-def: $vgpr32
	s_and_saveexec_b32 s2, s22
	s_cbranch_execz .LBB14_134
.LBB14_237:
	v_lshlrev_b32_e32 v5, 3, v1
	ds_load_b64 v[5:6], v5 offset:10240
	s_waitcnt lgkmcnt(0)
	v_lshrrev_b64 v[5:6], s48, v[5:6]
	s_delay_alu instid0(VALU_DEP_1)
	v_and_b32_e32 v32, s55, v5
	s_or_b32 exec_lo, exec_lo, s2
                                        ; implicit-def: $vgpr31
	s_and_saveexec_b32 s2, s23
	s_cbranch_execz .LBB14_135
.LBB14_238:
	v_lshlrev_b32_e32 v5, 3, v1
	ds_load_b64 v[5:6], v5 offset:12288
	s_waitcnt lgkmcnt(0)
	v_lshrrev_b64 v[5:6], s48, v[5:6]
	s_delay_alu instid0(VALU_DEP_1)
	v_and_b32_e32 v31, s55, v5
	s_or_b32 exec_lo, exec_lo, s2
                                        ; implicit-def: $vgpr30
	s_and_saveexec_b32 s2, s24
	s_cbranch_execz .LBB14_136
.LBB14_239:
	v_lshlrev_b32_e32 v5, 3, v1
	ds_load_b64 v[5:6], v5 offset:14336
	s_waitcnt lgkmcnt(0)
	v_lshrrev_b64 v[5:6], s48, v[5:6]
	s_delay_alu instid0(VALU_DEP_1)
	v_and_b32_e32 v30, s55, v5
	s_or_b32 exec_lo, exec_lo, s2
                                        ; implicit-def: $vgpr28
	s_and_saveexec_b32 s2, s25
	s_cbranch_execz .LBB14_137
.LBB14_240:
	v_lshlrev_b32_e32 v5, 3, v1
	ds_load_b64 v[5:6], v5 offset:16384
	s_waitcnt lgkmcnt(0)
	v_lshrrev_b64 v[5:6], s48, v[5:6]
	s_delay_alu instid0(VALU_DEP_1)
	v_and_b32_e32 v28, s55, v5
	s_or_b32 exec_lo, exec_lo, s2
                                        ; implicit-def: $vgpr27
	s_and_saveexec_b32 s2, s26
	s_cbranch_execz .LBB14_138
.LBB14_241:
	v_lshlrev_b32_e32 v5, 3, v1
	ds_load_b64 v[5:6], v5 offset:18432
	s_waitcnt lgkmcnt(0)
	v_lshrrev_b64 v[5:6], s48, v[5:6]
	s_delay_alu instid0(VALU_DEP_1)
	v_and_b32_e32 v27, s55, v5
	s_or_b32 exec_lo, exec_lo, s2
                                        ; implicit-def: $vgpr26
	s_and_saveexec_b32 s2, s27
	s_cbranch_execz .LBB14_139
.LBB14_242:
	v_lshlrev_b32_e32 v5, 3, v1
	ds_load_b64 v[5:6], v5 offset:20480
	s_waitcnt lgkmcnt(0)
	v_lshrrev_b64 v[5:6], s48, v[5:6]
	s_delay_alu instid0(VALU_DEP_1)
	v_and_b32_e32 v26, s55, v5
	s_or_b32 exec_lo, exec_lo, s2
                                        ; implicit-def: $vgpr24
	s_and_saveexec_b32 s2, s28
	s_cbranch_execz .LBB14_140
.LBB14_243:
	v_lshlrev_b32_e32 v5, 3, v1
	ds_load_b64 v[5:6], v5 offset:22528
	s_waitcnt lgkmcnt(0)
	v_lshrrev_b64 v[5:6], s48, v[5:6]
	s_delay_alu instid0(VALU_DEP_1)
	v_and_b32_e32 v24, s55, v5
	s_or_b32 exec_lo, exec_lo, s2
                                        ; implicit-def: $vgpr23
	s_and_saveexec_b32 s2, s29
	s_cbranch_execz .LBB14_141
.LBB14_244:
	v_lshlrev_b32_e32 v5, 3, v1
	ds_load_b64 v[5:6], v5 offset:24576
	s_waitcnt lgkmcnt(0)
	v_lshrrev_b64 v[5:6], s48, v[5:6]
	s_delay_alu instid0(VALU_DEP_1)
	v_and_b32_e32 v23, s55, v5
	s_or_b32 exec_lo, exec_lo, s2
                                        ; implicit-def: $vgpr21
	s_and_saveexec_b32 s2, s30
	s_cbranch_execz .LBB14_142
.LBB14_245:
	v_lshlrev_b32_e32 v5, 3, v1
	ds_load_b64 v[5:6], v5 offset:26624
	s_waitcnt lgkmcnt(0)
	v_lshrrev_b64 v[5:6], s48, v[5:6]
	s_delay_alu instid0(VALU_DEP_1)
	v_and_b32_e32 v21, s55, v5
	s_or_b32 exec_lo, exec_lo, s2
                                        ; implicit-def: $vgpr20
	s_and_saveexec_b32 s2, s31
	s_cbranch_execz .LBB14_143
.LBB14_246:
	v_lshlrev_b32_e32 v5, 3, v1
	ds_load_b64 v[5:6], v5 offset:28672
	s_waitcnt lgkmcnt(0)
	v_lshrrev_b64 v[5:6], s48, v[5:6]
	s_delay_alu instid0(VALU_DEP_1)
	v_and_b32_e32 v20, s55, v5
	s_or_b32 exec_lo, exec_lo, s2
                                        ; implicit-def: $vgpr6
	s_and_saveexec_b32 s2, s33
	s_cbranch_execz .LBB14_144
.LBB14_247:
	v_lshlrev_b32_e32 v5, 3, v1
	ds_load_b64 v[5:6], v5 offset:30720
	s_waitcnt lgkmcnt(0)
	v_lshrrev_b64 v[5:6], s48, v[5:6]
	s_delay_alu instid0(VALU_DEP_1)
	v_and_b32_e32 v6, s55, v5
	s_or_b32 exec_lo, exec_lo, s2
                                        ; implicit-def: $vgpr5
	s_and_saveexec_b32 s2, s34
	s_cbranch_execnz .LBB14_145
	s_branch .LBB14_146
.LBB14_248:
	v_lshlrev_b32_e32 v7, 3, v55
	ds_load_b64 v[11:12], v7
	ds_load_u8 v7, v1 offset:2048
	s_waitcnt lgkmcnt(1)
	v_add_co_u32 v9, vcc_lo, s42, v11
	v_add_co_ci_u32_e32 v12, vcc_lo, s43, v12, vcc_lo
	s_delay_alu instid0(VALU_DEP_2) | instskip(NEXT) | instid1(VALU_DEP_2)
	v_add_co_u32 v11, vcc_lo, v9, v1
	v_add_co_ci_u32_e32 v12, vcc_lo, 0, v12, vcc_lo
	s_waitcnt lgkmcnt(0)
	global_store_b8 v[11:12], v7, off
	s_or_b32 exec_lo, exec_lo, s2
	s_and_saveexec_b32 s2, s19
	s_cbranch_execz .LBB14_148
.LBB14_249:
	v_lshlrev_b32_e32 v7, 3, v43
	ds_load_b64 v[11:12], v7
	ds_load_u8 v7, v1 offset:2304
	s_waitcnt lgkmcnt(1)
	v_add_co_u32 v9, vcc_lo, s42, v11
	v_add_co_ci_u32_e32 v12, vcc_lo, s43, v12, vcc_lo
	s_delay_alu instid0(VALU_DEP_2) | instskip(NEXT) | instid1(VALU_DEP_2)
	v_add_co_u32 v11, vcc_lo, v9, v1
	v_add_co_ci_u32_e32 v12, vcc_lo, 0, v12, vcc_lo
	s_waitcnt lgkmcnt(0)
	global_store_b8 v[11:12], v7, off offset:256
	s_or_b32 exec_lo, exec_lo, s2
	s_and_saveexec_b32 s2, s20
	s_cbranch_execz .LBB14_149
.LBB14_250:
	v_lshlrev_b32_e32 v7, 3, v35
	ds_load_b64 v[11:12], v7
	ds_load_u8 v7, v1 offset:2560
	s_waitcnt lgkmcnt(1)
	v_add_co_u32 v9, vcc_lo, s42, v11
	v_add_co_ci_u32_e32 v12, vcc_lo, s43, v12, vcc_lo
	s_delay_alu instid0(VALU_DEP_2) | instskip(NEXT) | instid1(VALU_DEP_2)
	v_add_co_u32 v11, vcc_lo, v9, v1
	v_add_co_ci_u32_e32 v12, vcc_lo, 0, v12, vcc_lo
	s_waitcnt lgkmcnt(0)
	global_store_b8 v[11:12], v7, off offset:512
	s_or_b32 exec_lo, exec_lo, s2
	s_and_saveexec_b32 s2, s21
	s_cbranch_execz .LBB14_150
.LBB14_251:
	v_lshlrev_b32_e32 v7, 3, v34
	ds_load_b64 v[11:12], v7
	ds_load_u8 v7, v1 offset:2816
	s_waitcnt lgkmcnt(1)
	v_add_co_u32 v9, vcc_lo, s42, v11
	v_add_co_ci_u32_e32 v12, vcc_lo, s43, v12, vcc_lo
	s_delay_alu instid0(VALU_DEP_2) | instskip(NEXT) | instid1(VALU_DEP_2)
	v_add_co_u32 v11, vcc_lo, v9, v1
	v_add_co_ci_u32_e32 v12, vcc_lo, 0, v12, vcc_lo
	s_waitcnt lgkmcnt(0)
	global_store_b8 v[11:12], v7, off offset:768
	s_or_b32 exec_lo, exec_lo, s2
	s_and_saveexec_b32 s2, s22
	s_cbranch_execz .LBB14_151
.LBB14_252:
	v_lshlrev_b32_e32 v7, 3, v32
	ds_load_b64 v[11:12], v7
	ds_load_u8 v7, v1 offset:3072
	s_waitcnt lgkmcnt(1)
	v_add_co_u32 v9, vcc_lo, s42, v11
	v_add_co_ci_u32_e32 v12, vcc_lo, s43, v12, vcc_lo
	s_delay_alu instid0(VALU_DEP_2) | instskip(NEXT) | instid1(VALU_DEP_2)
	v_add_co_u32 v11, vcc_lo, v9, v1
	v_add_co_ci_u32_e32 v12, vcc_lo, 0, v12, vcc_lo
	s_waitcnt lgkmcnt(0)
	global_store_b8 v[11:12], v7, off offset:1024
	s_or_b32 exec_lo, exec_lo, s2
	s_and_saveexec_b32 s2, s23
	s_cbranch_execz .LBB14_152
.LBB14_253:
	v_lshlrev_b32_e32 v7, 3, v31
	ds_load_b64 v[11:12], v7
	ds_load_u8 v7, v1 offset:3328
	s_waitcnt lgkmcnt(1)
	v_add_co_u32 v9, vcc_lo, s42, v11
	v_add_co_ci_u32_e32 v12, vcc_lo, s43, v12, vcc_lo
	s_delay_alu instid0(VALU_DEP_2) | instskip(NEXT) | instid1(VALU_DEP_2)
	v_add_co_u32 v11, vcc_lo, v9, v1
	v_add_co_ci_u32_e32 v12, vcc_lo, 0, v12, vcc_lo
	s_waitcnt lgkmcnt(0)
	global_store_b8 v[11:12], v7, off offset:1280
	s_or_b32 exec_lo, exec_lo, s2
	s_and_saveexec_b32 s2, s24
	s_cbranch_execz .LBB14_153
.LBB14_254:
	v_lshlrev_b32_e32 v7, 3, v30
	ds_load_b64 v[11:12], v7
	ds_load_u8 v7, v1 offset:3584
	s_waitcnt lgkmcnt(1)
	v_add_co_u32 v9, vcc_lo, s42, v11
	v_add_co_ci_u32_e32 v12, vcc_lo, s43, v12, vcc_lo
	s_delay_alu instid0(VALU_DEP_2) | instskip(NEXT) | instid1(VALU_DEP_2)
	v_add_co_u32 v11, vcc_lo, v9, v1
	v_add_co_ci_u32_e32 v12, vcc_lo, 0, v12, vcc_lo
	s_waitcnt lgkmcnt(0)
	global_store_b8 v[11:12], v7, off offset:1536
	s_or_b32 exec_lo, exec_lo, s2
	s_and_saveexec_b32 s2, s25
	s_cbranch_execz .LBB14_154
.LBB14_255:
	v_lshlrev_b32_e32 v7, 3, v28
	ds_load_b64 v[11:12], v7
	ds_load_u8 v7, v1 offset:3840
	s_waitcnt lgkmcnt(1)
	v_add_co_u32 v9, vcc_lo, s42, v11
	v_add_co_ci_u32_e32 v12, vcc_lo, s43, v12, vcc_lo
	s_delay_alu instid0(VALU_DEP_2) | instskip(NEXT) | instid1(VALU_DEP_2)
	v_add_co_u32 v11, vcc_lo, v9, v1
	v_add_co_ci_u32_e32 v12, vcc_lo, 0, v12, vcc_lo
	s_waitcnt lgkmcnt(0)
	global_store_b8 v[11:12], v7, off offset:1792
	s_or_b32 exec_lo, exec_lo, s2
	s_and_saveexec_b32 s2, s26
	s_cbranch_execz .LBB14_155
.LBB14_256:
	v_lshlrev_b32_e32 v7, 3, v27
	ds_load_b64 v[11:12], v7
	ds_load_u8 v7, v1 offset:4096
	s_waitcnt lgkmcnt(1)
	v_add_co_u32 v9, vcc_lo, s42, v11
	v_add_co_ci_u32_e32 v12, vcc_lo, s43, v12, vcc_lo
	s_delay_alu instid0(VALU_DEP_2) | instskip(NEXT) | instid1(VALU_DEP_2)
	v_add_co_u32 v11, vcc_lo, v9, v1
	v_add_co_ci_u32_e32 v12, vcc_lo, 0, v12, vcc_lo
	s_waitcnt lgkmcnt(0)
	global_store_b8 v[11:12], v7, off offset:2048
	s_or_b32 exec_lo, exec_lo, s2
	s_and_saveexec_b32 s2, s27
	s_cbranch_execz .LBB14_156
.LBB14_257:
	v_lshlrev_b32_e32 v7, 3, v26
	ds_load_b64 v[11:12], v7
	ds_load_u8 v7, v1 offset:4352
	s_waitcnt lgkmcnt(1)
	v_add_co_u32 v9, vcc_lo, s42, v11
	v_add_co_ci_u32_e32 v12, vcc_lo, s43, v12, vcc_lo
	s_delay_alu instid0(VALU_DEP_2) | instskip(NEXT) | instid1(VALU_DEP_2)
	v_add_co_u32 v11, vcc_lo, v9, v1
	v_add_co_ci_u32_e32 v12, vcc_lo, 0, v12, vcc_lo
	s_waitcnt lgkmcnt(0)
	global_store_b8 v[11:12], v7, off offset:2304
	s_or_b32 exec_lo, exec_lo, s2
	s_and_saveexec_b32 s2, s28
	s_cbranch_execz .LBB14_157
.LBB14_258:
	v_lshlrev_b32_e32 v7, 3, v24
	ds_load_b64 v[11:12], v7
	ds_load_u8 v7, v1 offset:4608
	s_waitcnt lgkmcnt(1)
	v_add_co_u32 v9, vcc_lo, s42, v11
	v_add_co_ci_u32_e32 v12, vcc_lo, s43, v12, vcc_lo
	s_delay_alu instid0(VALU_DEP_2) | instskip(NEXT) | instid1(VALU_DEP_2)
	v_add_co_u32 v11, vcc_lo, v9, v1
	v_add_co_ci_u32_e32 v12, vcc_lo, 0, v12, vcc_lo
	s_waitcnt lgkmcnt(0)
	global_store_b8 v[11:12], v7, off offset:2560
	s_or_b32 exec_lo, exec_lo, s2
	s_and_saveexec_b32 s2, s29
	s_cbranch_execz .LBB14_158
.LBB14_259:
	v_lshlrev_b32_e32 v7, 3, v23
	ds_load_b64 v[11:12], v7
	ds_load_u8 v7, v1 offset:4864
	s_waitcnt lgkmcnt(1)
	v_add_co_u32 v9, vcc_lo, s42, v11
	v_add_co_ci_u32_e32 v12, vcc_lo, s43, v12, vcc_lo
	s_delay_alu instid0(VALU_DEP_2) | instskip(NEXT) | instid1(VALU_DEP_2)
	v_add_co_u32 v11, vcc_lo, v9, v1
	v_add_co_ci_u32_e32 v12, vcc_lo, 0, v12, vcc_lo
	s_waitcnt lgkmcnt(0)
	global_store_b8 v[11:12], v7, off offset:2816
	s_or_b32 exec_lo, exec_lo, s2
	s_and_saveexec_b32 s2, s30
	s_cbranch_execz .LBB14_159
.LBB14_260:
	v_lshlrev_b32_e32 v7, 3, v21
	ds_load_b64 v[11:12], v7
	ds_load_u8 v7, v1 offset:5120
	s_waitcnt lgkmcnt(1)
	v_add_co_u32 v9, vcc_lo, s42, v11
	v_add_co_ci_u32_e32 v12, vcc_lo, s43, v12, vcc_lo
	s_delay_alu instid0(VALU_DEP_2) | instskip(NEXT) | instid1(VALU_DEP_2)
	v_add_co_u32 v11, vcc_lo, v9, v1
	v_add_co_ci_u32_e32 v12, vcc_lo, 0, v12, vcc_lo
	s_waitcnt lgkmcnt(0)
	global_store_b8 v[11:12], v7, off offset:3072
	s_or_b32 exec_lo, exec_lo, s2
	s_and_saveexec_b32 s2, s31
	s_cbranch_execz .LBB14_160
.LBB14_261:
	v_lshlrev_b32_e32 v7, 3, v20
	ds_load_b64 v[11:12], v7
	ds_load_u8 v7, v1 offset:5376
	s_waitcnt lgkmcnt(1)
	v_add_co_u32 v9, vcc_lo, s42, v11
	v_add_co_ci_u32_e32 v12, vcc_lo, s43, v12, vcc_lo
	s_delay_alu instid0(VALU_DEP_2) | instskip(NEXT) | instid1(VALU_DEP_2)
	v_add_co_u32 v11, vcc_lo, v9, v1
	v_add_co_ci_u32_e32 v12, vcc_lo, 0, v12, vcc_lo
	s_waitcnt lgkmcnt(0)
	global_store_b8 v[11:12], v7, off offset:3328
	s_or_b32 exec_lo, exec_lo, s2
	s_and_saveexec_b32 s2, s33
	s_cbranch_execz .LBB14_161
.LBB14_262:
	v_lshlrev_b32_e32 v6, 3, v6
	ds_load_b64 v[6:7], v6
	ds_load_u8 v9, v1 offset:5632
	s_waitcnt lgkmcnt(1)
	v_add_co_u32 v6, vcc_lo, s42, v6
	v_add_co_ci_u32_e32 v7, vcc_lo, s43, v7, vcc_lo
	s_delay_alu instid0(VALU_DEP_2) | instskip(NEXT) | instid1(VALU_DEP_2)
	v_add_co_u32 v6, vcc_lo, v6, v1
	v_add_co_ci_u32_e32 v7, vcc_lo, 0, v7, vcc_lo
	s_waitcnt lgkmcnt(0)
	global_store_b8 v[6:7], v9, off offset:3584
	s_or_b32 exec_lo, exec_lo, s2
	s_and_saveexec_b32 s2, s34
	s_cbranch_execnz .LBB14_162
	s_branch .LBB14_163
	.section	.rodata,"a",@progbits
	.p2align	6, 0x0
	.amdhsa_kernel _ZN7rocprim17ROCPRIM_304000_NS6detail25onesweep_iteration_kernelINS1_34wrapped_radix_sort_onesweep_configINS0_14default_configElN2at4cuda3cub6detail10OpaqueTypeILi1EEEEELb1EPKlPlPKSA_PSA_mNS0_19identity_decomposerEEEvT1_T2_T3_T4_jPT5_SO_PNS1_23onesweep_lookback_stateET6_jjj
		.amdhsa_group_segment_fixed_size 34816
		.amdhsa_private_segment_fixed_size 0
		.amdhsa_kernarg_size 336
		.amdhsa_user_sgpr_count 15
		.amdhsa_user_sgpr_dispatch_ptr 0
		.amdhsa_user_sgpr_queue_ptr 0
		.amdhsa_user_sgpr_kernarg_segment_ptr 1
		.amdhsa_user_sgpr_dispatch_id 0
		.amdhsa_user_sgpr_private_segment_size 0
		.amdhsa_wavefront_size32 1
		.amdhsa_uses_dynamic_stack 0
		.amdhsa_enable_private_segment 0
		.amdhsa_system_sgpr_workgroup_id_x 1
		.amdhsa_system_sgpr_workgroup_id_y 0
		.amdhsa_system_sgpr_workgroup_id_z 0
		.amdhsa_system_sgpr_workgroup_info 0
		.amdhsa_system_vgpr_workitem_id 2
		.amdhsa_next_free_vgpr 116
		.amdhsa_next_free_sgpr 57
		.amdhsa_reserve_vcc 1
		.amdhsa_float_round_mode_32 0
		.amdhsa_float_round_mode_16_64 0
		.amdhsa_float_denorm_mode_32 3
		.amdhsa_float_denorm_mode_16_64 3
		.amdhsa_dx10_clamp 1
		.amdhsa_ieee_mode 1
		.amdhsa_fp16_overflow 0
		.amdhsa_workgroup_processor_mode 1
		.amdhsa_memory_ordered 1
		.amdhsa_forward_progress 0
		.amdhsa_shared_vgpr_count 0
		.amdhsa_exception_fp_ieee_invalid_op 0
		.amdhsa_exception_fp_denorm_src 0
		.amdhsa_exception_fp_ieee_div_zero 0
		.amdhsa_exception_fp_ieee_overflow 0
		.amdhsa_exception_fp_ieee_underflow 0
		.amdhsa_exception_fp_ieee_inexact 0
		.amdhsa_exception_int_div_zero 0
	.end_amdhsa_kernel
	.section	.text._ZN7rocprim17ROCPRIM_304000_NS6detail25onesweep_iteration_kernelINS1_34wrapped_radix_sort_onesweep_configINS0_14default_configElN2at4cuda3cub6detail10OpaqueTypeILi1EEEEELb1EPKlPlPKSA_PSA_mNS0_19identity_decomposerEEEvT1_T2_T3_T4_jPT5_SO_PNS1_23onesweep_lookback_stateET6_jjj,"axG",@progbits,_ZN7rocprim17ROCPRIM_304000_NS6detail25onesweep_iteration_kernelINS1_34wrapped_radix_sort_onesweep_configINS0_14default_configElN2at4cuda3cub6detail10OpaqueTypeILi1EEEEELb1EPKlPlPKSA_PSA_mNS0_19identity_decomposerEEEvT1_T2_T3_T4_jPT5_SO_PNS1_23onesweep_lookback_stateET6_jjj,comdat
.Lfunc_end14:
	.size	_ZN7rocprim17ROCPRIM_304000_NS6detail25onesweep_iteration_kernelINS1_34wrapped_radix_sort_onesweep_configINS0_14default_configElN2at4cuda3cub6detail10OpaqueTypeILi1EEEEELb1EPKlPlPKSA_PSA_mNS0_19identity_decomposerEEEvT1_T2_T3_T4_jPT5_SO_PNS1_23onesweep_lookback_stateET6_jjj, .Lfunc_end14-_ZN7rocprim17ROCPRIM_304000_NS6detail25onesweep_iteration_kernelINS1_34wrapped_radix_sort_onesweep_configINS0_14default_configElN2at4cuda3cub6detail10OpaqueTypeILi1EEEEELb1EPKlPlPKSA_PSA_mNS0_19identity_decomposerEEEvT1_T2_T3_T4_jPT5_SO_PNS1_23onesweep_lookback_stateET6_jjj
                                        ; -- End function
	.section	.AMDGPU.csdata,"",@progbits
; Kernel info:
; codeLenInByte = 24392
; NumSgprs: 59
; NumVgprs: 116
; ScratchSize: 0
; MemoryBound: 0
; FloatMode: 240
; IeeeMode: 1
; LDSByteSize: 34816 bytes/workgroup (compile time only)
; SGPRBlocks: 7
; VGPRBlocks: 14
; NumSGPRsForWavesPerEU: 59
; NumVGPRsForWavesPerEU: 116
; Occupancy: 6
; WaveLimiterHint : 1
; COMPUTE_PGM_RSRC2:SCRATCH_EN: 0
; COMPUTE_PGM_RSRC2:USER_SGPR: 15
; COMPUTE_PGM_RSRC2:TRAP_HANDLER: 0
; COMPUTE_PGM_RSRC2:TGID_X_EN: 1
; COMPUTE_PGM_RSRC2:TGID_Y_EN: 0
; COMPUTE_PGM_RSRC2:TGID_Z_EN: 0
; COMPUTE_PGM_RSRC2:TIDIG_COMP_CNT: 2
	.section	.text._ZN7rocprim17ROCPRIM_304000_NS6detail25onesweep_iteration_kernelINS1_34wrapped_radix_sort_onesweep_configINS0_14default_configElN2at4cuda3cub6detail10OpaqueTypeILi1EEEEELb1EPlSC_PSA_SD_mNS0_19identity_decomposerEEEvT1_T2_T3_T4_jPT5_SK_PNS1_23onesweep_lookback_stateET6_jjj,"axG",@progbits,_ZN7rocprim17ROCPRIM_304000_NS6detail25onesweep_iteration_kernelINS1_34wrapped_radix_sort_onesweep_configINS0_14default_configElN2at4cuda3cub6detail10OpaqueTypeILi1EEEEELb1EPlSC_PSA_SD_mNS0_19identity_decomposerEEEvT1_T2_T3_T4_jPT5_SK_PNS1_23onesweep_lookback_stateET6_jjj,comdat
	.protected	_ZN7rocprim17ROCPRIM_304000_NS6detail25onesweep_iteration_kernelINS1_34wrapped_radix_sort_onesweep_configINS0_14default_configElN2at4cuda3cub6detail10OpaqueTypeILi1EEEEELb1EPlSC_PSA_SD_mNS0_19identity_decomposerEEEvT1_T2_T3_T4_jPT5_SK_PNS1_23onesweep_lookback_stateET6_jjj ; -- Begin function _ZN7rocprim17ROCPRIM_304000_NS6detail25onesweep_iteration_kernelINS1_34wrapped_radix_sort_onesweep_configINS0_14default_configElN2at4cuda3cub6detail10OpaqueTypeILi1EEEEELb1EPlSC_PSA_SD_mNS0_19identity_decomposerEEEvT1_T2_T3_T4_jPT5_SK_PNS1_23onesweep_lookback_stateET6_jjj
	.globl	_ZN7rocprim17ROCPRIM_304000_NS6detail25onesweep_iteration_kernelINS1_34wrapped_radix_sort_onesweep_configINS0_14default_configElN2at4cuda3cub6detail10OpaqueTypeILi1EEEEELb1EPlSC_PSA_SD_mNS0_19identity_decomposerEEEvT1_T2_T3_T4_jPT5_SK_PNS1_23onesweep_lookback_stateET6_jjj
	.p2align	8
	.type	_ZN7rocprim17ROCPRIM_304000_NS6detail25onesweep_iteration_kernelINS1_34wrapped_radix_sort_onesweep_configINS0_14default_configElN2at4cuda3cub6detail10OpaqueTypeILi1EEEEELb1EPlSC_PSA_SD_mNS0_19identity_decomposerEEEvT1_T2_T3_T4_jPT5_SK_PNS1_23onesweep_lookback_stateET6_jjj,@function
_ZN7rocprim17ROCPRIM_304000_NS6detail25onesweep_iteration_kernelINS1_34wrapped_radix_sort_onesweep_configINS0_14default_configElN2at4cuda3cub6detail10OpaqueTypeILi1EEEEELb1EPlSC_PSA_SD_mNS0_19identity_decomposerEEEvT1_T2_T3_T4_jPT5_SK_PNS1_23onesweep_lookback_stateET6_jjj: ; @_ZN7rocprim17ROCPRIM_304000_NS6detail25onesweep_iteration_kernelINS1_34wrapped_radix_sort_onesweep_configINS0_14default_configElN2at4cuda3cub6detail10OpaqueTypeILi1EEEEELb1EPlSC_PSA_SD_mNS0_19identity_decomposerEEEvT1_T2_T3_T4_jPT5_SK_PNS1_23onesweep_lookback_stateET6_jjj
; %bb.0:
	s_clause 0x3
	s_load_b128 s[48:51], s[0:1], 0x44
	s_load_b256 s[36:43], s[0:1], 0x0
	s_load_b128 s[44:47], s[0:1], 0x28
	s_load_b64 s[52:53], s[0:1], 0x38
	v_and_b32_e32 v1, 0x3ff, v0
	v_mbcnt_lo_u32_b32 v42, -1, 0
	s_mov_b32 s54, s15
	s_waitcnt lgkmcnt(0)
	s_cmp_ge_u32 s15, s50
	s_cbranch_scc0 .LBB15_164
; %bb.1:
	s_load_b32 s6, s[0:1], 0x20
	s_mov_b32 s51, 0
	s_brev_b32 s5, 1
	s_mov_b32 s4, s51
	v_lshlrev_b32_e32 v2, 4, v1
	s_lshl_b32 s7, s50, 12
	s_lshl_b32 s50, s15, 12
	v_lshlrev_b32_e32 v3, 3, v42
	s_lshl_b64 s[2:3], s[50:51], 3
	v_and_b32_e32 v43, 0xe00, v2
	s_delay_alu instid0(VALU_DEP_1)
	v_lshlrev_b32_e32 v4, 3, v43
	s_waitcnt lgkmcnt(0)
	s_sub_i32 s35, s6, s7
	s_add_u32 s2, s36, s2
	s_addc_u32 s3, s37, s3
	v_add_co_u32 v3, s2, s2, v3
	s_delay_alu instid0(VALU_DEP_1) | instskip(NEXT) | instid1(VALU_DEP_2)
	v_add_co_ci_u32_e64 v5, null, s3, 0, s2
	v_add_co_u32 v34, s2, v3, v4
	s_delay_alu instid0(VALU_DEP_1) | instskip(SKIP_3) | instid1(VALU_DEP_2)
	v_add_co_ci_u32_e64 v35, s2, 0, v5, s2
	v_mov_b32_e32 v4, s4
	v_or_b32_e32 v2, v42, v43
	v_mov_b32_e32 v5, s5
	v_cmp_gt_u32_e32 vcc_lo, s35, v2
	s_and_saveexec_b32 s2, vcc_lo
	s_cbranch_execz .LBB15_3
; %bb.2:
	global_load_b64 v[4:5], v[34:35], off
.LBB15_3:
	s_or_b32 exec_lo, exec_lo, s2
	v_add_nc_u32_e32 v3, 32, v2
	v_dual_mov_b32 v7, s5 :: v_dual_mov_b32 v6, s4
	s_delay_alu instid0(VALU_DEP_2) | instskip(NEXT) | instid1(VALU_DEP_1)
	v_cmp_gt_u32_e64 s2, s35, v3
	s_and_saveexec_b32 s3, s2
	s_cbranch_execz .LBB15_5
; %bb.4:
	global_load_b64 v[6:7], v[34:35], off offset:256
.LBB15_5:
	s_or_b32 exec_lo, exec_lo, s3
	s_mov_b32 s6, 0
	s_brev_b32 s7, 1
	v_add_nc_u32_e32 v3, 64, v2
	v_dual_mov_b32 v9, s7 :: v_dual_mov_b32 v8, s6
	s_delay_alu instid0(VALU_DEP_2) | instskip(NEXT) | instid1(VALU_DEP_1)
	v_cmp_gt_u32_e64 s3, s35, v3
	s_and_saveexec_b32 s4, s3
	s_cbranch_execz .LBB15_7
; %bb.6:
	global_load_b64 v[8:9], v[34:35], off offset:512
.LBB15_7:
	s_or_b32 exec_lo, exec_lo, s4
	v_add_nc_u32_e32 v3, 0x60, v2
	v_dual_mov_b32 v11, s7 :: v_dual_mov_b32 v10, s6
	s_delay_alu instid0(VALU_DEP_2) | instskip(NEXT) | instid1(VALU_DEP_1)
	v_cmp_gt_u32_e64 s4, s35, v3
	s_and_saveexec_b32 s5, s4
	s_cbranch_execz .LBB15_9
; %bb.8:
	global_load_b64 v[10:11], v[34:35], off offset:768
.LBB15_9:
	s_or_b32 exec_lo, exec_lo, s5
	s_mov_b32 s8, 0
	s_brev_b32 s9, 1
	v_add_nc_u32_e32 v3, 0x80, v2
	v_dual_mov_b32 v17, s9 :: v_dual_mov_b32 v16, s8
	s_delay_alu instid0(VALU_DEP_2) | instskip(NEXT) | instid1(VALU_DEP_1)
	v_cmp_gt_u32_e64 s5, s35, v3
	s_and_saveexec_b32 s6, s5
	s_cbranch_execz .LBB15_11
; %bb.10:
	global_load_b64 v[16:17], v[34:35], off offset:1024
.LBB15_11:
	;; [unrolled: 22-line block ×5, first 2 shown]
	s_or_b32 exec_lo, exec_lo, s12
	v_add_nc_u32_e32 v3, 0x160, v2
	v_dual_mov_b32 v23, s17 :: v_dual_mov_b32 v22, s16
	s_delay_alu instid0(VALU_DEP_2) | instskip(NEXT) | instid1(VALU_DEP_1)
	v_cmp_gt_u32_e64 s12, s35, v3
	s_and_saveexec_b32 s13, s12
	s_cbranch_execz .LBB15_25
; %bb.24:
	global_load_b64 v[22:23], v[34:35], off offset:2816
.LBB15_25:
	s_or_b32 exec_lo, exec_lo, s13
	v_add_nc_u32_e32 v3, 0x180, v2
	v_dual_mov_b32 v19, s17 :: v_dual_mov_b32 v18, s16
	s_delay_alu instid0(VALU_DEP_2) | instskip(NEXT) | instid1(VALU_DEP_1)
	v_cmp_gt_u32_e64 s13, s35, v3
	s_and_saveexec_b32 s14, s13
	s_cbranch_execz .LBB15_27
; %bb.26:
	global_load_b64 v[18:19], v[34:35], off offset:3072
.LBB15_27:
	s_or_b32 exec_lo, exec_lo, s14
	v_dual_mov_b32 v14, s16 :: v_dual_add_nc_u32 v3, 0x1a0, v2
	v_mov_b32_e32 v15, s17
	s_delay_alu instid0(VALU_DEP_2) | instskip(NEXT) | instid1(VALU_DEP_1)
	v_cmp_gt_u32_e64 s14, s35, v3
	s_and_saveexec_b32 s16, s14
	s_cbranch_execz .LBB15_29
; %bb.28:
	global_load_b64 v[14:15], v[34:35], off offset:3328
.LBB15_29:
	s_or_b32 exec_lo, exec_lo, s16
	s_mov_b32 s18, 0
	s_brev_b32 s19, 1
	v_dual_mov_b32 v12, s18 :: v_dual_add_nc_u32 v3, 0x1c0, v2
	v_mov_b32_e32 v13, s19
	s_delay_alu instid0(VALU_DEP_2) | instskip(NEXT) | instid1(VALU_DEP_1)
	v_cmp_gt_u32_e64 s16, s35, v3
	s_and_saveexec_b32 s17, s16
	s_cbranch_execz .LBB15_31
; %bb.30:
	global_load_b64 v[12:13], v[34:35], off offset:3584
.LBB15_31:
	s_or_b32 exec_lo, exec_lo, s17
	v_add_nc_u32_e32 v2, 0x1e0, v2
	s_delay_alu instid0(VALU_DEP_1) | instskip(SKIP_1) | instid1(VALU_DEP_2)
	v_cmp_gt_u32_e64 s17, s35, v2
	v_dual_mov_b32 v2, s18 :: v_dual_mov_b32 v3, s19
	s_and_saveexec_b32 s18, s17
	s_cbranch_execz .LBB15_33
; %bb.32:
	global_load_b64 v[2:3], v[34:35], off offset:3840
.LBB15_33:
	s_or_b32 exec_lo, exec_lo, s18
	s_clause 0x1
	s_load_b32 s18, s[0:1], 0x5c
	s_load_b32 s51, s[0:1], 0x50
	s_add_u32 s19, s0, 0x50
	s_addc_u32 s20, s1, 0
	v_mov_b32_e32 v37, 0
	s_waitcnt vmcnt(0)
	v_xor_b32_e32 v5, 0x7fffffff, v5
	v_not_b32_e32 v4, v4
	s_delay_alu instid0(VALU_DEP_1) | instskip(SKIP_4) | instid1(SALU_CYCLE_1)
	v_lshrrev_b64 v[34:35], s48, v[4:5]
	s_waitcnt lgkmcnt(0)
	s_lshr_b32 s21, s18, 16
	s_cmp_lt_u32 s15, s51
	s_cselect_b32 s18, 12, 18
	s_add_u32 s18, s19, s18
	s_addc_u32 s19, s20, 0
	global_load_u16 v38, v37, s[18:19]
	s_lshl_b32 s18, -1, s49
	s_delay_alu instid0(SALU_CYCLE_1) | instskip(NEXT) | instid1(SALU_CYCLE_1)
	s_not_b32 s55, s18
	v_and_b32_e32 v39, s55, v34
	v_bfe_u32 v34, v0, 10, 10
	s_delay_alu instid0(VALU_DEP_2)
	v_lshlrev_b32_e32 v36, 30, v39
	v_and_b32_e32 v35, 1, v39
	v_lshlrev_b32_e32 v40, 29, v39
	v_lshlrev_b32_e32 v41, 28, v39
	;; [unrolled: 1-line block ×3, first 2 shown]
	v_not_b32_e32 v48, v36
	v_add_co_u32 v35, s18, v35, -1
	s_delay_alu instid0(VALU_DEP_1)
	v_cndmask_b32_e64 v44, 0, 1, s18
	v_cmp_gt_i32_e64 s19, 0, v36
	v_not_b32_e32 v36, v40
	v_ashrrev_i32_e32 v48, 31, v48
	v_lshlrev_b32_e32 v46, 26, v39
	v_cmp_ne_u32_e64 s18, 0, v44
	v_lshlrev_b32_e32 v47, 25, v39
	v_ashrrev_i32_e32 v36, 31, v36
	v_xor_b32_e32 v48, s19, v48
	v_cmp_gt_i32_e64 s19, 0, v41
	v_xor_b32_e32 v35, s18, v35
	v_cmp_gt_i32_e64 s18, 0, v40
	v_not_b32_e32 v40, v41
	v_not_b32_e32 v41, v45
	v_lshlrev_b32_e32 v44, 24, v39
	v_and_b32_e32 v35, exec_lo, v35
	v_xor_b32_e32 v36, s18, v36
	v_ashrrev_i32_e32 v40, 31, v40
	v_cmp_gt_i32_e64 s18, 0, v45
	v_not_b32_e32 v45, v46
	v_and_b32_e32 v35, v35, v48
	v_ashrrev_i32_e32 v41, 31, v41
	v_xor_b32_e32 v40, s19, v40
	v_cmp_gt_i32_e64 s19, 0, v46
	v_ashrrev_i32_e32 v45, 31, v45
	v_and_b32_e32 v35, v35, v36
	v_not_b32_e32 v36, v47
	v_xor_b32_e32 v41, s18, v41
	v_cmp_gt_i32_e64 s18, 0, v47
	v_xor_b32_e32 v45, s19, v45
	v_and_b32_e32 v35, v35, v40
	v_not_b32_e32 v40, v44
	v_ashrrev_i32_e32 v36, 31, v36
	v_cmp_gt_i32_e64 s19, 0, v44
	v_mul_u32_u24_e32 v44, 9, v1
	v_and_b32_e32 v35, v35, v41
	v_bfe_u32 v41, v0, 20, 10
	v_ashrrev_i32_e32 v40, 31, v40
	v_xor_b32_e32 v36, s18, v36
	s_delay_alu instid0(VALU_DEP_4) | instskip(NEXT) | instid1(VALU_DEP_4)
	v_and_b32_e32 v35, v35, v45
	v_mad_u32_u24 v34, v41, s21, v34
	s_delay_alu instid0(VALU_DEP_4)
	v_xor_b32_e32 v40, s19, v40
	v_lshlrev_b32_e32 v45, 2, v44
	ds_store_2addr_b32 v45, v37, v37 offset0:8 offset1:9
	ds_store_2addr_b32 v45, v37, v37 offset0:10 offset1:11
	;; [unrolled: 1-line block ×4, first 2 shown]
	v_and_b32_e32 v41, v35, v36
	ds_store_b32 v45, v37 offset:64
	s_waitcnt vmcnt(0) lgkmcnt(0)
	s_barrier
	buffer_gl0_inv
	; wave barrier
	v_mad_u64_u32 v[35:36], null, v34, v38, v[1:2]
	v_and_b32_e32 v34, v41, v40
	s_delay_alu instid0(VALU_DEP_1) | instskip(NEXT) | instid1(VALU_DEP_3)
	v_mbcnt_lo_u32_b32 v44, v34, 0
	v_lshrrev_b32_e32 v36, 5, v35
	v_lshl_add_u32 v35, v39, 3, v39
	v_cmp_ne_u32_e64 s19, 0, v34
	s_delay_alu instid0(VALU_DEP_4) | instskip(NEXT) | instid1(VALU_DEP_3)
	v_cmp_eq_u32_e64 s18, 0, v44
	v_add_lshl_u32 v46, v36, v35, 2
	s_delay_alu instid0(VALU_DEP_2) | instskip(NEXT) | instid1(SALU_CYCLE_1)
	s_and_b32 s19, s19, s18
	s_and_saveexec_b32 s18, s19
	s_cbranch_execz .LBB15_35
; %bb.34:
	v_bcnt_u32_b32 v34, v34, 0
	ds_store_b32 v46, v34 offset:32
.LBB15_35:
	s_or_b32 exec_lo, exec_lo, s18
	v_xor_b32_e32 v7, 0x7fffffff, v7
	v_not_b32_e32 v6, v6
	; wave barrier
	s_delay_alu instid0(VALU_DEP_1) | instskip(NEXT) | instid1(VALU_DEP_1)
	v_lshrrev_b64 v[34:35], s48, v[6:7]
	v_and_b32_e32 v34, s55, v34
	s_delay_alu instid0(VALU_DEP_1)
	v_and_b32_e32 v35, 1, v34
	v_lshlrev_b32_e32 v37, 30, v34
	v_lshlrev_b32_e32 v38, 29, v34
	;; [unrolled: 1-line block ×4, first 2 shown]
	v_add_co_u32 v35, s18, v35, -1
	s_delay_alu instid0(VALU_DEP_1)
	v_cndmask_b32_e64 v40, 0, 1, s18
	v_not_b32_e32 v49, v37
	v_cmp_gt_i32_e64 s19, 0, v37
	v_not_b32_e32 v37, v38
	v_lshlrev_b32_e32 v47, 26, v34
	v_cmp_ne_u32_e64 s18, 0, v40
	v_ashrrev_i32_e32 v49, 31, v49
	v_lshlrev_b32_e32 v48, 25, v34
	v_ashrrev_i32_e32 v37, 31, v37
	v_lshlrev_b32_e32 v40, 24, v34
	v_xor_b32_e32 v35, s18, v35
	v_cmp_gt_i32_e64 s18, 0, v38
	v_not_b32_e32 v38, v39
	v_xor_b32_e32 v49, s19, v49
	v_cmp_gt_i32_e64 s19, 0, v39
	v_and_b32_e32 v35, exec_lo, v35
	v_not_b32_e32 v39, v41
	v_ashrrev_i32_e32 v38, 31, v38
	v_xor_b32_e32 v37, s18, v37
	v_cmp_gt_i32_e64 s18, 0, v41
	v_and_b32_e32 v35, v35, v49
	v_not_b32_e32 v41, v47
	v_ashrrev_i32_e32 v39, 31, v39
	v_xor_b32_e32 v38, s19, v38
	v_cmp_gt_i32_e64 s19, 0, v47
	v_and_b32_e32 v35, v35, v37
	;; [unrolled: 5-line block ×3, first 2 shown]
	v_not_b32_e32 v38, v40
	v_ashrrev_i32_e32 v37, 31, v37
	v_xor_b32_e32 v41, s19, v41
	v_lshl_add_u32 v34, v34, 3, v34
	v_and_b32_e32 v35, v35, v39
	v_cmp_gt_i32_e64 s19, 0, v40
	v_ashrrev_i32_e32 v38, 31, v38
	v_xor_b32_e32 v37, s18, v37
	v_add_lshl_u32 v49, v36, v34, 2
	v_and_b32_e32 v35, v35, v41
	s_delay_alu instid0(VALU_DEP_4) | instskip(SKIP_2) | instid1(VALU_DEP_1)
	v_xor_b32_e32 v34, s19, v38
	ds_load_b32 v47, v49 offset:32
	v_and_b32_e32 v35, v35, v37
	; wave barrier
	v_and_b32_e32 v34, v35, v34
	s_delay_alu instid0(VALU_DEP_1) | instskip(SKIP_1) | instid1(VALU_DEP_2)
	v_mbcnt_lo_u32_b32 v48, v34, 0
	v_cmp_ne_u32_e64 s19, 0, v34
	v_cmp_eq_u32_e64 s18, 0, v48
	s_delay_alu instid0(VALU_DEP_1) | instskip(NEXT) | instid1(SALU_CYCLE_1)
	s_and_b32 s19, s19, s18
	s_and_saveexec_b32 s18, s19
	s_cbranch_execz .LBB15_37
; %bb.36:
	s_waitcnt lgkmcnt(0)
	v_bcnt_u32_b32 v34, v34, v47
	ds_store_b32 v49, v34 offset:32
.LBB15_37:
	s_or_b32 exec_lo, exec_lo, s18
	v_xor_b32_e32 v9, 0x7fffffff, v9
	v_not_b32_e32 v8, v8
	; wave barrier
	s_delay_alu instid0(VALU_DEP_1) | instskip(NEXT) | instid1(VALU_DEP_1)
	v_lshrrev_b64 v[34:35], s48, v[8:9]
	v_and_b32_e32 v34, s55, v34
	s_delay_alu instid0(VALU_DEP_1)
	v_and_b32_e32 v35, 1, v34
	v_lshlrev_b32_e32 v37, 30, v34
	v_lshlrev_b32_e32 v38, 29, v34
	;; [unrolled: 1-line block ×4, first 2 shown]
	v_add_co_u32 v35, s18, v35, -1
	s_delay_alu instid0(VALU_DEP_1)
	v_cndmask_b32_e64 v40, 0, 1, s18
	v_not_b32_e32 v52, v37
	v_cmp_gt_i32_e64 s19, 0, v37
	v_not_b32_e32 v37, v38
	v_lshlrev_b32_e32 v50, 26, v34
	v_cmp_ne_u32_e64 s18, 0, v40
	v_ashrrev_i32_e32 v52, 31, v52
	v_lshlrev_b32_e32 v51, 25, v34
	v_ashrrev_i32_e32 v37, 31, v37
	v_lshlrev_b32_e32 v40, 24, v34
	v_xor_b32_e32 v35, s18, v35
	v_cmp_gt_i32_e64 s18, 0, v38
	v_not_b32_e32 v38, v39
	v_xor_b32_e32 v52, s19, v52
	v_cmp_gt_i32_e64 s19, 0, v39
	v_and_b32_e32 v35, exec_lo, v35
	v_not_b32_e32 v39, v41
	v_ashrrev_i32_e32 v38, 31, v38
	v_xor_b32_e32 v37, s18, v37
	v_cmp_gt_i32_e64 s18, 0, v41
	v_and_b32_e32 v35, v35, v52
	v_not_b32_e32 v41, v50
	v_ashrrev_i32_e32 v39, 31, v39
	v_xor_b32_e32 v38, s19, v38
	v_cmp_gt_i32_e64 s19, 0, v50
	v_and_b32_e32 v35, v35, v37
	v_not_b32_e32 v37, v51
	v_ashrrev_i32_e32 v41, 31, v41
	v_xor_b32_e32 v39, s18, v39
	v_cmp_gt_i32_e64 s18, 0, v51
	v_and_b32_e32 v35, v35, v38
	v_not_b32_e32 v38, v40
	v_ashrrev_i32_e32 v37, 31, v37
	v_xor_b32_e32 v41, s19, v41
	v_lshl_add_u32 v34, v34, 3, v34
	v_and_b32_e32 v35, v35, v39
	v_cmp_gt_i32_e64 s19, 0, v40
	v_ashrrev_i32_e32 v38, 31, v38
	v_xor_b32_e32 v37, s18, v37
	v_add_lshl_u32 v52, v36, v34, 2
	v_and_b32_e32 v35, v35, v41
	s_delay_alu instid0(VALU_DEP_4) | instskip(SKIP_2) | instid1(VALU_DEP_1)
	v_xor_b32_e32 v34, s19, v38
	ds_load_b32 v50, v52 offset:32
	v_and_b32_e32 v35, v35, v37
	; wave barrier
	v_and_b32_e32 v34, v35, v34
	s_delay_alu instid0(VALU_DEP_1) | instskip(SKIP_1) | instid1(VALU_DEP_2)
	v_mbcnt_lo_u32_b32 v51, v34, 0
	v_cmp_ne_u32_e64 s19, 0, v34
	v_cmp_eq_u32_e64 s18, 0, v51
	s_delay_alu instid0(VALU_DEP_1) | instskip(NEXT) | instid1(SALU_CYCLE_1)
	s_and_b32 s19, s19, s18
	s_and_saveexec_b32 s18, s19
	s_cbranch_execz .LBB15_39
; %bb.38:
	s_waitcnt lgkmcnt(0)
	v_bcnt_u32_b32 v34, v34, v50
	ds_store_b32 v52, v34 offset:32
.LBB15_39:
	s_or_b32 exec_lo, exec_lo, s18
	v_xor_b32_e32 v11, 0x7fffffff, v11
	v_not_b32_e32 v10, v10
	; wave barrier
	s_delay_alu instid0(VALU_DEP_1) | instskip(NEXT) | instid1(VALU_DEP_1)
	v_lshrrev_b64 v[34:35], s48, v[10:11]
	v_and_b32_e32 v34, s55, v34
	s_delay_alu instid0(VALU_DEP_1)
	v_and_b32_e32 v35, 1, v34
	v_lshlrev_b32_e32 v37, 30, v34
	v_lshlrev_b32_e32 v38, 29, v34
	;; [unrolled: 1-line block ×4, first 2 shown]
	v_add_co_u32 v35, s18, v35, -1
	s_delay_alu instid0(VALU_DEP_1)
	v_cndmask_b32_e64 v40, 0, 1, s18
	v_not_b32_e32 v55, v37
	v_cmp_gt_i32_e64 s19, 0, v37
	v_not_b32_e32 v37, v38
	v_lshlrev_b32_e32 v53, 26, v34
	v_cmp_ne_u32_e64 s18, 0, v40
	v_ashrrev_i32_e32 v55, 31, v55
	v_lshlrev_b32_e32 v54, 25, v34
	v_ashrrev_i32_e32 v37, 31, v37
	v_lshlrev_b32_e32 v40, 24, v34
	v_xor_b32_e32 v35, s18, v35
	v_cmp_gt_i32_e64 s18, 0, v38
	v_not_b32_e32 v38, v39
	v_xor_b32_e32 v55, s19, v55
	v_cmp_gt_i32_e64 s19, 0, v39
	v_and_b32_e32 v35, exec_lo, v35
	v_not_b32_e32 v39, v41
	v_ashrrev_i32_e32 v38, 31, v38
	v_xor_b32_e32 v37, s18, v37
	v_cmp_gt_i32_e64 s18, 0, v41
	v_and_b32_e32 v35, v35, v55
	v_not_b32_e32 v41, v53
	v_ashrrev_i32_e32 v39, 31, v39
	v_xor_b32_e32 v38, s19, v38
	v_cmp_gt_i32_e64 s19, 0, v53
	v_and_b32_e32 v35, v35, v37
	;; [unrolled: 5-line block ×3, first 2 shown]
	v_not_b32_e32 v38, v40
	v_ashrrev_i32_e32 v37, 31, v37
	v_xor_b32_e32 v41, s19, v41
	v_lshl_add_u32 v34, v34, 3, v34
	v_and_b32_e32 v35, v35, v39
	v_cmp_gt_i32_e64 s19, 0, v40
	v_ashrrev_i32_e32 v38, 31, v38
	v_xor_b32_e32 v37, s18, v37
	v_add_lshl_u32 v55, v36, v34, 2
	v_and_b32_e32 v35, v35, v41
	s_delay_alu instid0(VALU_DEP_4) | instskip(SKIP_2) | instid1(VALU_DEP_1)
	v_xor_b32_e32 v34, s19, v38
	ds_load_b32 v53, v55 offset:32
	v_and_b32_e32 v35, v35, v37
	; wave barrier
	v_and_b32_e32 v34, v35, v34
	s_delay_alu instid0(VALU_DEP_1) | instskip(SKIP_1) | instid1(VALU_DEP_2)
	v_mbcnt_lo_u32_b32 v54, v34, 0
	v_cmp_ne_u32_e64 s19, 0, v34
	v_cmp_eq_u32_e64 s18, 0, v54
	s_delay_alu instid0(VALU_DEP_1) | instskip(NEXT) | instid1(SALU_CYCLE_1)
	s_and_b32 s19, s19, s18
	s_and_saveexec_b32 s18, s19
	s_cbranch_execz .LBB15_41
; %bb.40:
	s_waitcnt lgkmcnt(0)
	v_bcnt_u32_b32 v34, v34, v53
	ds_store_b32 v55, v34 offset:32
.LBB15_41:
	s_or_b32 exec_lo, exec_lo, s18
	v_xor_b32_e32 v17, 0x7fffffff, v17
	v_not_b32_e32 v16, v16
	; wave barrier
	s_delay_alu instid0(VALU_DEP_1) | instskip(NEXT) | instid1(VALU_DEP_1)
	v_lshrrev_b64 v[34:35], s48, v[16:17]
	v_and_b32_e32 v34, s55, v34
	s_delay_alu instid0(VALU_DEP_1)
	v_and_b32_e32 v35, 1, v34
	v_lshlrev_b32_e32 v37, 30, v34
	v_lshlrev_b32_e32 v38, 29, v34
	;; [unrolled: 1-line block ×4, first 2 shown]
	v_add_co_u32 v35, s18, v35, -1
	s_delay_alu instid0(VALU_DEP_1)
	v_cndmask_b32_e64 v40, 0, 1, s18
	v_not_b32_e32 v58, v37
	v_cmp_gt_i32_e64 s19, 0, v37
	v_not_b32_e32 v37, v38
	v_lshlrev_b32_e32 v56, 26, v34
	v_cmp_ne_u32_e64 s18, 0, v40
	v_ashrrev_i32_e32 v58, 31, v58
	v_lshlrev_b32_e32 v57, 25, v34
	v_ashrrev_i32_e32 v37, 31, v37
	v_lshlrev_b32_e32 v40, 24, v34
	v_xor_b32_e32 v35, s18, v35
	v_cmp_gt_i32_e64 s18, 0, v38
	v_not_b32_e32 v38, v39
	v_xor_b32_e32 v58, s19, v58
	v_cmp_gt_i32_e64 s19, 0, v39
	v_and_b32_e32 v35, exec_lo, v35
	v_not_b32_e32 v39, v41
	v_ashrrev_i32_e32 v38, 31, v38
	v_xor_b32_e32 v37, s18, v37
	v_cmp_gt_i32_e64 s18, 0, v41
	v_and_b32_e32 v35, v35, v58
	v_not_b32_e32 v41, v56
	v_ashrrev_i32_e32 v39, 31, v39
	v_xor_b32_e32 v38, s19, v38
	v_cmp_gt_i32_e64 s19, 0, v56
	v_and_b32_e32 v35, v35, v37
	;; [unrolled: 5-line block ×3, first 2 shown]
	v_not_b32_e32 v38, v40
	v_ashrrev_i32_e32 v37, 31, v37
	v_xor_b32_e32 v41, s19, v41
	v_lshl_add_u32 v34, v34, 3, v34
	v_and_b32_e32 v35, v35, v39
	v_cmp_gt_i32_e64 s19, 0, v40
	v_ashrrev_i32_e32 v38, 31, v38
	v_xor_b32_e32 v37, s18, v37
	v_add_lshl_u32 v58, v36, v34, 2
	v_and_b32_e32 v35, v35, v41
	s_delay_alu instid0(VALU_DEP_4) | instskip(SKIP_2) | instid1(VALU_DEP_1)
	v_xor_b32_e32 v34, s19, v38
	ds_load_b32 v56, v58 offset:32
	v_and_b32_e32 v35, v35, v37
	; wave barrier
	v_and_b32_e32 v34, v35, v34
	s_delay_alu instid0(VALU_DEP_1) | instskip(SKIP_1) | instid1(VALU_DEP_2)
	v_mbcnt_lo_u32_b32 v57, v34, 0
	v_cmp_ne_u32_e64 s19, 0, v34
	v_cmp_eq_u32_e64 s18, 0, v57
	s_delay_alu instid0(VALU_DEP_1) | instskip(NEXT) | instid1(SALU_CYCLE_1)
	s_and_b32 s19, s19, s18
	s_and_saveexec_b32 s18, s19
	s_cbranch_execz .LBB15_43
; %bb.42:
	s_waitcnt lgkmcnt(0)
	v_bcnt_u32_b32 v34, v34, v56
	ds_store_b32 v58, v34 offset:32
.LBB15_43:
	s_or_b32 exec_lo, exec_lo, s18
	v_xor_b32_e32 v21, 0x7fffffff, v21
	v_not_b32_e32 v20, v20
	; wave barrier
	s_delay_alu instid0(VALU_DEP_1) | instskip(NEXT) | instid1(VALU_DEP_1)
	v_lshrrev_b64 v[34:35], s48, v[20:21]
	v_and_b32_e32 v34, s55, v34
	s_delay_alu instid0(VALU_DEP_1)
	v_and_b32_e32 v35, 1, v34
	v_lshlrev_b32_e32 v37, 30, v34
	v_lshlrev_b32_e32 v38, 29, v34
	;; [unrolled: 1-line block ×4, first 2 shown]
	v_add_co_u32 v35, s18, v35, -1
	s_delay_alu instid0(VALU_DEP_1)
	v_cndmask_b32_e64 v40, 0, 1, s18
	v_not_b32_e32 v61, v37
	v_cmp_gt_i32_e64 s19, 0, v37
	v_not_b32_e32 v37, v38
	v_lshlrev_b32_e32 v59, 26, v34
	v_cmp_ne_u32_e64 s18, 0, v40
	v_ashrrev_i32_e32 v61, 31, v61
	v_lshlrev_b32_e32 v60, 25, v34
	v_ashrrev_i32_e32 v37, 31, v37
	v_lshlrev_b32_e32 v40, 24, v34
	v_xor_b32_e32 v35, s18, v35
	v_cmp_gt_i32_e64 s18, 0, v38
	v_not_b32_e32 v38, v39
	v_xor_b32_e32 v61, s19, v61
	v_cmp_gt_i32_e64 s19, 0, v39
	v_and_b32_e32 v35, exec_lo, v35
	v_not_b32_e32 v39, v41
	v_ashrrev_i32_e32 v38, 31, v38
	v_xor_b32_e32 v37, s18, v37
	v_cmp_gt_i32_e64 s18, 0, v41
	v_and_b32_e32 v35, v35, v61
	v_not_b32_e32 v41, v59
	v_ashrrev_i32_e32 v39, 31, v39
	v_xor_b32_e32 v38, s19, v38
	v_cmp_gt_i32_e64 s19, 0, v59
	v_and_b32_e32 v35, v35, v37
	;; [unrolled: 5-line block ×3, first 2 shown]
	v_not_b32_e32 v38, v40
	v_ashrrev_i32_e32 v37, 31, v37
	v_xor_b32_e32 v41, s19, v41
	v_lshl_add_u32 v34, v34, 3, v34
	v_and_b32_e32 v35, v35, v39
	v_cmp_gt_i32_e64 s19, 0, v40
	v_ashrrev_i32_e32 v38, 31, v38
	v_xor_b32_e32 v37, s18, v37
	v_add_lshl_u32 v61, v36, v34, 2
	v_and_b32_e32 v35, v35, v41
	s_delay_alu instid0(VALU_DEP_4) | instskip(SKIP_2) | instid1(VALU_DEP_1)
	v_xor_b32_e32 v34, s19, v38
	ds_load_b32 v59, v61 offset:32
	v_and_b32_e32 v35, v35, v37
	; wave barrier
	v_and_b32_e32 v34, v35, v34
	s_delay_alu instid0(VALU_DEP_1) | instskip(SKIP_1) | instid1(VALU_DEP_2)
	v_mbcnt_lo_u32_b32 v60, v34, 0
	v_cmp_ne_u32_e64 s19, 0, v34
	v_cmp_eq_u32_e64 s18, 0, v60
	s_delay_alu instid0(VALU_DEP_1) | instskip(NEXT) | instid1(SALU_CYCLE_1)
	s_and_b32 s19, s19, s18
	s_and_saveexec_b32 s18, s19
	s_cbranch_execz .LBB15_45
; %bb.44:
	s_waitcnt lgkmcnt(0)
	v_bcnt_u32_b32 v34, v34, v59
	ds_store_b32 v61, v34 offset:32
.LBB15_45:
	s_or_b32 exec_lo, exec_lo, s18
	v_xor_b32_e32 v25, 0x7fffffff, v25
	v_not_b32_e32 v24, v24
	; wave barrier
	s_delay_alu instid0(VALU_DEP_1) | instskip(NEXT) | instid1(VALU_DEP_1)
	v_lshrrev_b64 v[34:35], s48, v[24:25]
	v_and_b32_e32 v34, s55, v34
	s_delay_alu instid0(VALU_DEP_1)
	v_and_b32_e32 v35, 1, v34
	v_lshlrev_b32_e32 v37, 30, v34
	v_lshlrev_b32_e32 v38, 29, v34
	;; [unrolled: 1-line block ×4, first 2 shown]
	v_add_co_u32 v35, s18, v35, -1
	s_delay_alu instid0(VALU_DEP_1)
	v_cndmask_b32_e64 v40, 0, 1, s18
	v_not_b32_e32 v64, v37
	v_cmp_gt_i32_e64 s19, 0, v37
	v_not_b32_e32 v37, v38
	v_lshlrev_b32_e32 v62, 26, v34
	v_cmp_ne_u32_e64 s18, 0, v40
	v_ashrrev_i32_e32 v64, 31, v64
	v_lshlrev_b32_e32 v63, 25, v34
	v_ashrrev_i32_e32 v37, 31, v37
	v_lshlrev_b32_e32 v40, 24, v34
	v_xor_b32_e32 v35, s18, v35
	v_cmp_gt_i32_e64 s18, 0, v38
	v_not_b32_e32 v38, v39
	v_xor_b32_e32 v64, s19, v64
	v_cmp_gt_i32_e64 s19, 0, v39
	v_and_b32_e32 v35, exec_lo, v35
	v_not_b32_e32 v39, v41
	v_ashrrev_i32_e32 v38, 31, v38
	v_xor_b32_e32 v37, s18, v37
	v_cmp_gt_i32_e64 s18, 0, v41
	v_and_b32_e32 v35, v35, v64
	v_not_b32_e32 v41, v62
	v_ashrrev_i32_e32 v39, 31, v39
	v_xor_b32_e32 v38, s19, v38
	v_cmp_gt_i32_e64 s19, 0, v62
	v_and_b32_e32 v35, v35, v37
	v_not_b32_e32 v37, v63
	v_ashrrev_i32_e32 v41, 31, v41
	v_xor_b32_e32 v39, s18, v39
	v_cmp_gt_i32_e64 s18, 0, v63
	v_and_b32_e32 v35, v35, v38
	v_not_b32_e32 v38, v40
	v_ashrrev_i32_e32 v37, 31, v37
	v_xor_b32_e32 v41, s19, v41
	v_lshl_add_u32 v34, v34, 3, v34
	v_and_b32_e32 v35, v35, v39
	v_cmp_gt_i32_e64 s19, 0, v40
	v_ashrrev_i32_e32 v38, 31, v38
	v_xor_b32_e32 v37, s18, v37
	v_add_lshl_u32 v64, v36, v34, 2
	v_and_b32_e32 v35, v35, v41
	s_delay_alu instid0(VALU_DEP_4) | instskip(SKIP_2) | instid1(VALU_DEP_1)
	v_xor_b32_e32 v34, s19, v38
	ds_load_b32 v62, v64 offset:32
	v_and_b32_e32 v35, v35, v37
	; wave barrier
	v_and_b32_e32 v34, v35, v34
	s_delay_alu instid0(VALU_DEP_1) | instskip(SKIP_1) | instid1(VALU_DEP_2)
	v_mbcnt_lo_u32_b32 v63, v34, 0
	v_cmp_ne_u32_e64 s19, 0, v34
	v_cmp_eq_u32_e64 s18, 0, v63
	s_delay_alu instid0(VALU_DEP_1) | instskip(NEXT) | instid1(SALU_CYCLE_1)
	s_and_b32 s19, s19, s18
	s_and_saveexec_b32 s18, s19
	s_cbranch_execz .LBB15_47
; %bb.46:
	s_waitcnt lgkmcnt(0)
	v_bcnt_u32_b32 v34, v34, v62
	ds_store_b32 v64, v34 offset:32
.LBB15_47:
	s_or_b32 exec_lo, exec_lo, s18
	v_xor_b32_e32 v29, 0x7fffffff, v29
	v_not_b32_e32 v28, v28
	; wave barrier
	s_delay_alu instid0(VALU_DEP_1) | instskip(NEXT) | instid1(VALU_DEP_1)
	v_lshrrev_b64 v[34:35], s48, v[28:29]
	v_and_b32_e32 v34, s55, v34
	s_delay_alu instid0(VALU_DEP_1)
	v_and_b32_e32 v35, 1, v34
	v_lshlrev_b32_e32 v37, 30, v34
	v_lshlrev_b32_e32 v38, 29, v34
	;; [unrolled: 1-line block ×4, first 2 shown]
	v_add_co_u32 v35, s18, v35, -1
	s_delay_alu instid0(VALU_DEP_1)
	v_cndmask_b32_e64 v40, 0, 1, s18
	v_not_b32_e32 v67, v37
	v_cmp_gt_i32_e64 s19, 0, v37
	v_not_b32_e32 v37, v38
	v_lshlrev_b32_e32 v65, 26, v34
	v_cmp_ne_u32_e64 s18, 0, v40
	v_ashrrev_i32_e32 v67, 31, v67
	v_lshlrev_b32_e32 v66, 25, v34
	v_ashrrev_i32_e32 v37, 31, v37
	v_lshlrev_b32_e32 v40, 24, v34
	v_xor_b32_e32 v35, s18, v35
	v_cmp_gt_i32_e64 s18, 0, v38
	v_not_b32_e32 v38, v39
	v_xor_b32_e32 v67, s19, v67
	v_cmp_gt_i32_e64 s19, 0, v39
	v_and_b32_e32 v35, exec_lo, v35
	v_not_b32_e32 v39, v41
	v_ashrrev_i32_e32 v38, 31, v38
	v_xor_b32_e32 v37, s18, v37
	v_cmp_gt_i32_e64 s18, 0, v41
	v_and_b32_e32 v35, v35, v67
	v_not_b32_e32 v41, v65
	v_ashrrev_i32_e32 v39, 31, v39
	v_xor_b32_e32 v38, s19, v38
	v_cmp_gt_i32_e64 s19, 0, v65
	v_and_b32_e32 v35, v35, v37
	;; [unrolled: 5-line block ×3, first 2 shown]
	v_not_b32_e32 v38, v40
	v_ashrrev_i32_e32 v37, 31, v37
	v_xor_b32_e32 v41, s19, v41
	v_lshl_add_u32 v34, v34, 3, v34
	v_and_b32_e32 v35, v35, v39
	v_cmp_gt_i32_e64 s19, 0, v40
	v_ashrrev_i32_e32 v38, 31, v38
	v_xor_b32_e32 v37, s18, v37
	v_add_lshl_u32 v67, v36, v34, 2
	v_and_b32_e32 v35, v35, v41
	s_delay_alu instid0(VALU_DEP_4) | instskip(SKIP_2) | instid1(VALU_DEP_1)
	v_xor_b32_e32 v34, s19, v38
	ds_load_b32 v65, v67 offset:32
	v_and_b32_e32 v35, v35, v37
	; wave barrier
	v_and_b32_e32 v34, v35, v34
	s_delay_alu instid0(VALU_DEP_1) | instskip(SKIP_1) | instid1(VALU_DEP_2)
	v_mbcnt_lo_u32_b32 v66, v34, 0
	v_cmp_ne_u32_e64 s19, 0, v34
	v_cmp_eq_u32_e64 s18, 0, v66
	s_delay_alu instid0(VALU_DEP_1) | instskip(NEXT) | instid1(SALU_CYCLE_1)
	s_and_b32 s19, s19, s18
	s_and_saveexec_b32 s18, s19
	s_cbranch_execz .LBB15_49
; %bb.48:
	s_waitcnt lgkmcnt(0)
	v_bcnt_u32_b32 v34, v34, v65
	ds_store_b32 v67, v34 offset:32
.LBB15_49:
	s_or_b32 exec_lo, exec_lo, s18
	v_xor_b32_e32 v33, 0x7fffffff, v33
	v_not_b32_e32 v32, v32
	; wave barrier
	s_delay_alu instid0(VALU_DEP_1) | instskip(NEXT) | instid1(VALU_DEP_1)
	v_lshrrev_b64 v[34:35], s48, v[32:33]
	v_and_b32_e32 v34, s55, v34
	s_delay_alu instid0(VALU_DEP_1)
	v_and_b32_e32 v35, 1, v34
	v_lshlrev_b32_e32 v37, 30, v34
	v_lshlrev_b32_e32 v38, 29, v34
	;; [unrolled: 1-line block ×4, first 2 shown]
	v_add_co_u32 v35, s18, v35, -1
	s_delay_alu instid0(VALU_DEP_1)
	v_cndmask_b32_e64 v40, 0, 1, s18
	v_not_b32_e32 v70, v37
	v_cmp_gt_i32_e64 s19, 0, v37
	v_not_b32_e32 v37, v38
	v_lshlrev_b32_e32 v68, 26, v34
	v_cmp_ne_u32_e64 s18, 0, v40
	v_ashrrev_i32_e32 v70, 31, v70
	v_lshlrev_b32_e32 v69, 25, v34
	v_ashrrev_i32_e32 v37, 31, v37
	v_lshlrev_b32_e32 v40, 24, v34
	v_xor_b32_e32 v35, s18, v35
	v_cmp_gt_i32_e64 s18, 0, v38
	v_not_b32_e32 v38, v39
	v_xor_b32_e32 v70, s19, v70
	v_cmp_gt_i32_e64 s19, 0, v39
	v_and_b32_e32 v35, exec_lo, v35
	v_not_b32_e32 v39, v41
	v_ashrrev_i32_e32 v38, 31, v38
	v_xor_b32_e32 v37, s18, v37
	v_cmp_gt_i32_e64 s18, 0, v41
	v_and_b32_e32 v35, v35, v70
	v_not_b32_e32 v41, v68
	v_ashrrev_i32_e32 v39, 31, v39
	v_xor_b32_e32 v38, s19, v38
	v_cmp_gt_i32_e64 s19, 0, v68
	v_and_b32_e32 v35, v35, v37
	;; [unrolled: 5-line block ×3, first 2 shown]
	v_not_b32_e32 v38, v40
	v_ashrrev_i32_e32 v37, 31, v37
	v_xor_b32_e32 v41, s19, v41
	v_lshl_add_u32 v34, v34, 3, v34
	v_and_b32_e32 v35, v35, v39
	v_cmp_gt_i32_e64 s19, 0, v40
	v_ashrrev_i32_e32 v38, 31, v38
	v_xor_b32_e32 v37, s18, v37
	v_add_lshl_u32 v70, v36, v34, 2
	v_and_b32_e32 v35, v35, v41
	s_delay_alu instid0(VALU_DEP_4) | instskip(SKIP_2) | instid1(VALU_DEP_1)
	v_xor_b32_e32 v34, s19, v38
	ds_load_b32 v68, v70 offset:32
	v_and_b32_e32 v35, v35, v37
	; wave barrier
	v_and_b32_e32 v34, v35, v34
	s_delay_alu instid0(VALU_DEP_1) | instskip(SKIP_1) | instid1(VALU_DEP_2)
	v_mbcnt_lo_u32_b32 v69, v34, 0
	v_cmp_ne_u32_e64 s19, 0, v34
	v_cmp_eq_u32_e64 s18, 0, v69
	s_delay_alu instid0(VALU_DEP_1) | instskip(NEXT) | instid1(SALU_CYCLE_1)
	s_and_b32 s19, s19, s18
	s_and_saveexec_b32 s18, s19
	s_cbranch_execz .LBB15_51
; %bb.50:
	s_waitcnt lgkmcnt(0)
	v_bcnt_u32_b32 v34, v34, v68
	ds_store_b32 v70, v34 offset:32
.LBB15_51:
	s_or_b32 exec_lo, exec_lo, s18
	v_xor_b32_e32 v31, 0x7fffffff, v31
	v_not_b32_e32 v30, v30
	; wave barrier
	s_delay_alu instid0(VALU_DEP_1) | instskip(NEXT) | instid1(VALU_DEP_1)
	v_lshrrev_b64 v[34:35], s48, v[30:31]
	v_and_b32_e32 v34, s55, v34
	s_delay_alu instid0(VALU_DEP_1)
	v_and_b32_e32 v35, 1, v34
	v_lshlrev_b32_e32 v37, 30, v34
	v_lshlrev_b32_e32 v38, 29, v34
	;; [unrolled: 1-line block ×4, first 2 shown]
	v_add_co_u32 v35, s18, v35, -1
	s_delay_alu instid0(VALU_DEP_1)
	v_cndmask_b32_e64 v40, 0, 1, s18
	v_not_b32_e32 v73, v37
	v_cmp_gt_i32_e64 s19, 0, v37
	v_not_b32_e32 v37, v38
	v_lshlrev_b32_e32 v71, 26, v34
	v_cmp_ne_u32_e64 s18, 0, v40
	v_ashrrev_i32_e32 v73, 31, v73
	v_lshlrev_b32_e32 v72, 25, v34
	v_ashrrev_i32_e32 v37, 31, v37
	v_lshlrev_b32_e32 v40, 24, v34
	v_xor_b32_e32 v35, s18, v35
	v_cmp_gt_i32_e64 s18, 0, v38
	v_not_b32_e32 v38, v39
	v_xor_b32_e32 v73, s19, v73
	v_cmp_gt_i32_e64 s19, 0, v39
	v_and_b32_e32 v35, exec_lo, v35
	v_not_b32_e32 v39, v41
	v_ashrrev_i32_e32 v38, 31, v38
	v_xor_b32_e32 v37, s18, v37
	v_cmp_gt_i32_e64 s18, 0, v41
	v_and_b32_e32 v35, v35, v73
	v_not_b32_e32 v41, v71
	v_ashrrev_i32_e32 v39, 31, v39
	v_xor_b32_e32 v38, s19, v38
	v_cmp_gt_i32_e64 s19, 0, v71
	v_and_b32_e32 v35, v35, v37
	;; [unrolled: 5-line block ×3, first 2 shown]
	v_not_b32_e32 v38, v40
	v_ashrrev_i32_e32 v37, 31, v37
	v_xor_b32_e32 v41, s19, v41
	v_lshl_add_u32 v34, v34, 3, v34
	v_and_b32_e32 v35, v35, v39
	v_cmp_gt_i32_e64 s19, 0, v40
	v_ashrrev_i32_e32 v38, 31, v38
	v_xor_b32_e32 v37, s18, v37
	v_add_lshl_u32 v73, v36, v34, 2
	v_and_b32_e32 v35, v35, v41
	s_delay_alu instid0(VALU_DEP_4) | instskip(SKIP_2) | instid1(VALU_DEP_1)
	v_xor_b32_e32 v34, s19, v38
	ds_load_b32 v71, v73 offset:32
	v_and_b32_e32 v35, v35, v37
	; wave barrier
	v_and_b32_e32 v34, v35, v34
	s_delay_alu instid0(VALU_DEP_1) | instskip(SKIP_1) | instid1(VALU_DEP_2)
	v_mbcnt_lo_u32_b32 v72, v34, 0
	v_cmp_ne_u32_e64 s19, 0, v34
	v_cmp_eq_u32_e64 s18, 0, v72
	s_delay_alu instid0(VALU_DEP_1) | instskip(NEXT) | instid1(SALU_CYCLE_1)
	s_and_b32 s19, s19, s18
	s_and_saveexec_b32 s18, s19
	s_cbranch_execz .LBB15_53
; %bb.52:
	s_waitcnt lgkmcnt(0)
	v_bcnt_u32_b32 v34, v34, v71
	ds_store_b32 v73, v34 offset:32
.LBB15_53:
	s_or_b32 exec_lo, exec_lo, s18
	v_xor_b32_e32 v27, 0x7fffffff, v27
	v_not_b32_e32 v26, v26
	; wave barrier
	s_delay_alu instid0(VALU_DEP_1) | instskip(NEXT) | instid1(VALU_DEP_1)
	v_lshrrev_b64 v[34:35], s48, v[26:27]
	v_and_b32_e32 v34, s55, v34
	s_delay_alu instid0(VALU_DEP_1)
	v_and_b32_e32 v35, 1, v34
	v_lshlrev_b32_e32 v37, 30, v34
	v_lshlrev_b32_e32 v38, 29, v34
	;; [unrolled: 1-line block ×4, first 2 shown]
	v_add_co_u32 v35, s18, v35, -1
	s_delay_alu instid0(VALU_DEP_1)
	v_cndmask_b32_e64 v40, 0, 1, s18
	v_not_b32_e32 v76, v37
	v_cmp_gt_i32_e64 s19, 0, v37
	v_not_b32_e32 v37, v38
	v_lshlrev_b32_e32 v74, 26, v34
	v_cmp_ne_u32_e64 s18, 0, v40
	v_ashrrev_i32_e32 v76, 31, v76
	v_lshlrev_b32_e32 v75, 25, v34
	v_ashrrev_i32_e32 v37, 31, v37
	v_lshlrev_b32_e32 v40, 24, v34
	v_xor_b32_e32 v35, s18, v35
	v_cmp_gt_i32_e64 s18, 0, v38
	v_not_b32_e32 v38, v39
	v_xor_b32_e32 v76, s19, v76
	v_cmp_gt_i32_e64 s19, 0, v39
	v_and_b32_e32 v35, exec_lo, v35
	v_not_b32_e32 v39, v41
	v_ashrrev_i32_e32 v38, 31, v38
	v_xor_b32_e32 v37, s18, v37
	v_cmp_gt_i32_e64 s18, 0, v41
	v_and_b32_e32 v35, v35, v76
	v_not_b32_e32 v41, v74
	v_ashrrev_i32_e32 v39, 31, v39
	v_xor_b32_e32 v38, s19, v38
	v_cmp_gt_i32_e64 s19, 0, v74
	v_and_b32_e32 v35, v35, v37
	;; [unrolled: 5-line block ×3, first 2 shown]
	v_not_b32_e32 v38, v40
	v_ashrrev_i32_e32 v37, 31, v37
	v_xor_b32_e32 v41, s19, v41
	v_lshl_add_u32 v34, v34, 3, v34
	v_and_b32_e32 v35, v35, v39
	v_cmp_gt_i32_e64 s19, 0, v40
	v_ashrrev_i32_e32 v38, 31, v38
	v_xor_b32_e32 v37, s18, v37
	v_add_lshl_u32 v76, v36, v34, 2
	v_and_b32_e32 v35, v35, v41
	s_delay_alu instid0(VALU_DEP_4) | instskip(SKIP_2) | instid1(VALU_DEP_1)
	v_xor_b32_e32 v34, s19, v38
	ds_load_b32 v74, v76 offset:32
	v_and_b32_e32 v35, v35, v37
	; wave barrier
	v_and_b32_e32 v34, v35, v34
	s_delay_alu instid0(VALU_DEP_1) | instskip(SKIP_1) | instid1(VALU_DEP_2)
	v_mbcnt_lo_u32_b32 v75, v34, 0
	v_cmp_ne_u32_e64 s19, 0, v34
	v_cmp_eq_u32_e64 s18, 0, v75
	s_delay_alu instid0(VALU_DEP_1) | instskip(NEXT) | instid1(SALU_CYCLE_1)
	s_and_b32 s19, s19, s18
	s_and_saveexec_b32 s18, s19
	s_cbranch_execz .LBB15_55
; %bb.54:
	s_waitcnt lgkmcnt(0)
	v_bcnt_u32_b32 v34, v34, v74
	ds_store_b32 v76, v34 offset:32
.LBB15_55:
	s_or_b32 exec_lo, exec_lo, s18
	v_xor_b32_e32 v23, 0x7fffffff, v23
	v_not_b32_e32 v22, v22
	; wave barrier
	s_delay_alu instid0(VALU_DEP_1) | instskip(NEXT) | instid1(VALU_DEP_1)
	v_lshrrev_b64 v[34:35], s48, v[22:23]
	v_and_b32_e32 v34, s55, v34
	s_delay_alu instid0(VALU_DEP_1)
	v_and_b32_e32 v35, 1, v34
	v_lshlrev_b32_e32 v37, 30, v34
	v_lshlrev_b32_e32 v38, 29, v34
	;; [unrolled: 1-line block ×4, first 2 shown]
	v_add_co_u32 v35, s18, v35, -1
	s_delay_alu instid0(VALU_DEP_1)
	v_cndmask_b32_e64 v40, 0, 1, s18
	v_not_b32_e32 v79, v37
	v_cmp_gt_i32_e64 s19, 0, v37
	v_not_b32_e32 v37, v38
	v_lshlrev_b32_e32 v77, 26, v34
	v_cmp_ne_u32_e64 s18, 0, v40
	v_ashrrev_i32_e32 v79, 31, v79
	v_lshlrev_b32_e32 v78, 25, v34
	v_ashrrev_i32_e32 v37, 31, v37
	v_lshlrev_b32_e32 v40, 24, v34
	v_xor_b32_e32 v35, s18, v35
	v_cmp_gt_i32_e64 s18, 0, v38
	v_not_b32_e32 v38, v39
	v_xor_b32_e32 v79, s19, v79
	v_cmp_gt_i32_e64 s19, 0, v39
	v_and_b32_e32 v35, exec_lo, v35
	v_not_b32_e32 v39, v41
	v_ashrrev_i32_e32 v38, 31, v38
	v_xor_b32_e32 v37, s18, v37
	v_cmp_gt_i32_e64 s18, 0, v41
	v_and_b32_e32 v35, v35, v79
	v_not_b32_e32 v41, v77
	v_ashrrev_i32_e32 v39, 31, v39
	v_xor_b32_e32 v38, s19, v38
	v_cmp_gt_i32_e64 s19, 0, v77
	v_and_b32_e32 v35, v35, v37
	v_not_b32_e32 v37, v78
	v_ashrrev_i32_e32 v41, 31, v41
	v_xor_b32_e32 v39, s18, v39
	v_cmp_gt_i32_e64 s18, 0, v78
	v_and_b32_e32 v35, v35, v38
	v_not_b32_e32 v38, v40
	v_ashrrev_i32_e32 v37, 31, v37
	v_xor_b32_e32 v41, s19, v41
	v_lshl_add_u32 v34, v34, 3, v34
	v_and_b32_e32 v35, v35, v39
	v_cmp_gt_i32_e64 s19, 0, v40
	v_ashrrev_i32_e32 v38, 31, v38
	v_xor_b32_e32 v37, s18, v37
	v_add_lshl_u32 v79, v36, v34, 2
	v_and_b32_e32 v35, v35, v41
	s_delay_alu instid0(VALU_DEP_4) | instskip(SKIP_2) | instid1(VALU_DEP_1)
	v_xor_b32_e32 v34, s19, v38
	ds_load_b32 v77, v79 offset:32
	v_and_b32_e32 v35, v35, v37
	; wave barrier
	v_and_b32_e32 v34, v35, v34
	s_delay_alu instid0(VALU_DEP_1) | instskip(SKIP_1) | instid1(VALU_DEP_2)
	v_mbcnt_lo_u32_b32 v78, v34, 0
	v_cmp_ne_u32_e64 s19, 0, v34
	v_cmp_eq_u32_e64 s18, 0, v78
	s_delay_alu instid0(VALU_DEP_1) | instskip(NEXT) | instid1(SALU_CYCLE_1)
	s_and_b32 s19, s19, s18
	s_and_saveexec_b32 s18, s19
	s_cbranch_execz .LBB15_57
; %bb.56:
	s_waitcnt lgkmcnt(0)
	v_bcnt_u32_b32 v34, v34, v77
	ds_store_b32 v79, v34 offset:32
.LBB15_57:
	s_or_b32 exec_lo, exec_lo, s18
	v_xor_b32_e32 v19, 0x7fffffff, v19
	v_not_b32_e32 v18, v18
	; wave barrier
	s_delay_alu instid0(VALU_DEP_1) | instskip(NEXT) | instid1(VALU_DEP_1)
	v_lshrrev_b64 v[34:35], s48, v[18:19]
	v_and_b32_e32 v34, s55, v34
	s_delay_alu instid0(VALU_DEP_1)
	v_and_b32_e32 v35, 1, v34
	v_lshlrev_b32_e32 v37, 30, v34
	v_lshlrev_b32_e32 v38, 29, v34
	;; [unrolled: 1-line block ×4, first 2 shown]
	v_add_co_u32 v35, s18, v35, -1
	s_delay_alu instid0(VALU_DEP_1)
	v_cndmask_b32_e64 v40, 0, 1, s18
	v_not_b32_e32 v82, v37
	v_cmp_gt_i32_e64 s19, 0, v37
	v_not_b32_e32 v37, v38
	v_lshlrev_b32_e32 v80, 26, v34
	v_cmp_ne_u32_e64 s18, 0, v40
	v_ashrrev_i32_e32 v82, 31, v82
	v_lshlrev_b32_e32 v81, 25, v34
	v_ashrrev_i32_e32 v37, 31, v37
	v_lshlrev_b32_e32 v40, 24, v34
	v_xor_b32_e32 v35, s18, v35
	v_cmp_gt_i32_e64 s18, 0, v38
	v_not_b32_e32 v38, v39
	v_xor_b32_e32 v82, s19, v82
	v_cmp_gt_i32_e64 s19, 0, v39
	v_and_b32_e32 v35, exec_lo, v35
	v_not_b32_e32 v39, v41
	v_ashrrev_i32_e32 v38, 31, v38
	v_xor_b32_e32 v37, s18, v37
	v_cmp_gt_i32_e64 s18, 0, v41
	v_and_b32_e32 v35, v35, v82
	v_not_b32_e32 v41, v80
	v_ashrrev_i32_e32 v39, 31, v39
	v_xor_b32_e32 v38, s19, v38
	v_cmp_gt_i32_e64 s19, 0, v80
	v_and_b32_e32 v35, v35, v37
	;; [unrolled: 5-line block ×3, first 2 shown]
	v_not_b32_e32 v38, v40
	v_ashrrev_i32_e32 v37, 31, v37
	v_xor_b32_e32 v41, s19, v41
	v_lshl_add_u32 v34, v34, 3, v34
	v_and_b32_e32 v35, v35, v39
	v_cmp_gt_i32_e64 s19, 0, v40
	v_ashrrev_i32_e32 v38, 31, v38
	v_xor_b32_e32 v37, s18, v37
	v_add_lshl_u32 v82, v36, v34, 2
	v_and_b32_e32 v35, v35, v41
	s_delay_alu instid0(VALU_DEP_4) | instskip(SKIP_2) | instid1(VALU_DEP_1)
	v_xor_b32_e32 v34, s19, v38
	ds_load_b32 v80, v82 offset:32
	v_and_b32_e32 v35, v35, v37
	; wave barrier
	v_and_b32_e32 v34, v35, v34
	s_delay_alu instid0(VALU_DEP_1) | instskip(SKIP_1) | instid1(VALU_DEP_2)
	v_mbcnt_lo_u32_b32 v81, v34, 0
	v_cmp_ne_u32_e64 s19, 0, v34
	v_cmp_eq_u32_e64 s18, 0, v81
	s_delay_alu instid0(VALU_DEP_1) | instskip(NEXT) | instid1(SALU_CYCLE_1)
	s_and_b32 s19, s19, s18
	s_and_saveexec_b32 s18, s19
	s_cbranch_execz .LBB15_59
; %bb.58:
	s_waitcnt lgkmcnt(0)
	v_bcnt_u32_b32 v34, v34, v80
	ds_store_b32 v82, v34 offset:32
.LBB15_59:
	s_or_b32 exec_lo, exec_lo, s18
	v_xor_b32_e32 v15, 0x7fffffff, v15
	v_not_b32_e32 v14, v14
	; wave barrier
	s_delay_alu instid0(VALU_DEP_1) | instskip(NEXT) | instid1(VALU_DEP_1)
	v_lshrrev_b64 v[34:35], s48, v[14:15]
	v_and_b32_e32 v34, s55, v34
	s_delay_alu instid0(VALU_DEP_1)
	v_and_b32_e32 v35, 1, v34
	v_lshlrev_b32_e32 v37, 30, v34
	v_lshlrev_b32_e32 v38, 29, v34
	;; [unrolled: 1-line block ×4, first 2 shown]
	v_add_co_u32 v35, s18, v35, -1
	s_delay_alu instid0(VALU_DEP_1)
	v_cndmask_b32_e64 v40, 0, 1, s18
	v_not_b32_e32 v85, v37
	v_cmp_gt_i32_e64 s19, 0, v37
	v_not_b32_e32 v37, v38
	v_lshlrev_b32_e32 v83, 26, v34
	v_cmp_ne_u32_e64 s18, 0, v40
	v_ashrrev_i32_e32 v85, 31, v85
	v_lshlrev_b32_e32 v84, 25, v34
	v_ashrrev_i32_e32 v37, 31, v37
	v_lshlrev_b32_e32 v40, 24, v34
	v_xor_b32_e32 v35, s18, v35
	v_cmp_gt_i32_e64 s18, 0, v38
	v_not_b32_e32 v38, v39
	v_xor_b32_e32 v85, s19, v85
	v_cmp_gt_i32_e64 s19, 0, v39
	v_and_b32_e32 v35, exec_lo, v35
	v_not_b32_e32 v39, v41
	v_ashrrev_i32_e32 v38, 31, v38
	v_xor_b32_e32 v37, s18, v37
	v_cmp_gt_i32_e64 s18, 0, v41
	v_and_b32_e32 v35, v35, v85
	v_not_b32_e32 v41, v83
	v_ashrrev_i32_e32 v39, 31, v39
	v_xor_b32_e32 v38, s19, v38
	v_cmp_gt_i32_e64 s19, 0, v83
	v_and_b32_e32 v35, v35, v37
	;; [unrolled: 5-line block ×3, first 2 shown]
	v_not_b32_e32 v38, v40
	v_ashrrev_i32_e32 v37, 31, v37
	v_xor_b32_e32 v41, s19, v41
	v_lshl_add_u32 v34, v34, 3, v34
	v_and_b32_e32 v35, v35, v39
	v_cmp_gt_i32_e64 s19, 0, v40
	v_ashrrev_i32_e32 v38, 31, v38
	v_xor_b32_e32 v37, s18, v37
	v_add_lshl_u32 v85, v36, v34, 2
	v_and_b32_e32 v35, v35, v41
	s_delay_alu instid0(VALU_DEP_4) | instskip(SKIP_2) | instid1(VALU_DEP_1)
	v_xor_b32_e32 v34, s19, v38
	ds_load_b32 v83, v85 offset:32
	v_and_b32_e32 v35, v35, v37
	; wave barrier
	v_and_b32_e32 v34, v35, v34
	s_delay_alu instid0(VALU_DEP_1) | instskip(SKIP_1) | instid1(VALU_DEP_2)
	v_mbcnt_lo_u32_b32 v84, v34, 0
	v_cmp_ne_u32_e64 s19, 0, v34
	v_cmp_eq_u32_e64 s18, 0, v84
	s_delay_alu instid0(VALU_DEP_1) | instskip(NEXT) | instid1(SALU_CYCLE_1)
	s_and_b32 s19, s19, s18
	s_and_saveexec_b32 s18, s19
	s_cbranch_execz .LBB15_61
; %bb.60:
	s_waitcnt lgkmcnt(0)
	v_bcnt_u32_b32 v34, v34, v83
	ds_store_b32 v85, v34 offset:32
.LBB15_61:
	s_or_b32 exec_lo, exec_lo, s18
	v_xor_b32_e32 v13, 0x7fffffff, v13
	v_not_b32_e32 v12, v12
	; wave barrier
	s_delay_alu instid0(VALU_DEP_1) | instskip(NEXT) | instid1(VALU_DEP_1)
	v_lshrrev_b64 v[34:35], s48, v[12:13]
	v_and_b32_e32 v34, s55, v34
	s_delay_alu instid0(VALU_DEP_1)
	v_and_b32_e32 v35, 1, v34
	v_lshlrev_b32_e32 v37, 30, v34
	v_lshlrev_b32_e32 v38, 29, v34
	;; [unrolled: 1-line block ×4, first 2 shown]
	v_add_co_u32 v35, s18, v35, -1
	s_delay_alu instid0(VALU_DEP_1)
	v_cndmask_b32_e64 v40, 0, 1, s18
	v_not_b32_e32 v88, v37
	v_cmp_gt_i32_e64 s19, 0, v37
	v_not_b32_e32 v37, v38
	v_lshlrev_b32_e32 v86, 26, v34
	v_cmp_ne_u32_e64 s18, 0, v40
	v_ashrrev_i32_e32 v88, 31, v88
	v_lshlrev_b32_e32 v87, 25, v34
	v_ashrrev_i32_e32 v37, 31, v37
	v_lshlrev_b32_e32 v40, 24, v34
	v_xor_b32_e32 v35, s18, v35
	v_cmp_gt_i32_e64 s18, 0, v38
	v_not_b32_e32 v38, v39
	v_xor_b32_e32 v88, s19, v88
	v_cmp_gt_i32_e64 s19, 0, v39
	v_and_b32_e32 v35, exec_lo, v35
	v_not_b32_e32 v39, v41
	v_ashrrev_i32_e32 v38, 31, v38
	v_xor_b32_e32 v37, s18, v37
	v_cmp_gt_i32_e64 s18, 0, v41
	v_and_b32_e32 v35, v35, v88
	v_not_b32_e32 v41, v86
	v_ashrrev_i32_e32 v39, 31, v39
	v_xor_b32_e32 v38, s19, v38
	v_cmp_gt_i32_e64 s19, 0, v86
	v_and_b32_e32 v35, v35, v37
	;; [unrolled: 5-line block ×3, first 2 shown]
	v_not_b32_e32 v38, v40
	v_ashrrev_i32_e32 v37, 31, v37
	v_xor_b32_e32 v41, s19, v41
	v_lshl_add_u32 v34, v34, 3, v34
	v_and_b32_e32 v35, v35, v39
	v_cmp_gt_i32_e64 s19, 0, v40
	v_ashrrev_i32_e32 v38, 31, v38
	v_xor_b32_e32 v37, s18, v37
	v_add_lshl_u32 v88, v36, v34, 2
	v_and_b32_e32 v35, v35, v41
	s_delay_alu instid0(VALU_DEP_4) | instskip(SKIP_2) | instid1(VALU_DEP_1)
	v_xor_b32_e32 v34, s19, v38
	ds_load_b32 v86, v88 offset:32
	v_and_b32_e32 v35, v35, v37
	; wave barrier
	v_and_b32_e32 v34, v35, v34
	s_delay_alu instid0(VALU_DEP_1) | instskip(SKIP_1) | instid1(VALU_DEP_2)
	v_mbcnt_lo_u32_b32 v87, v34, 0
	v_cmp_ne_u32_e64 s19, 0, v34
	v_cmp_eq_u32_e64 s18, 0, v87
	s_delay_alu instid0(VALU_DEP_1) | instskip(NEXT) | instid1(SALU_CYCLE_1)
	s_and_b32 s19, s19, s18
	s_and_saveexec_b32 s18, s19
	s_cbranch_execz .LBB15_63
; %bb.62:
	s_waitcnt lgkmcnt(0)
	v_bcnt_u32_b32 v34, v34, v86
	ds_store_b32 v88, v34 offset:32
.LBB15_63:
	s_or_b32 exec_lo, exec_lo, s18
	v_xor_b32_e32 v35, 0x7fffffff, v3
	v_not_b32_e32 v34, v2
	; wave barrier
	v_add_nc_u32_e32 v92, 32, v45
	s_delay_alu instid0(VALU_DEP_2) | instskip(NEXT) | instid1(VALU_DEP_1)
	v_lshrrev_b64 v[2:3], s48, v[34:35]
	v_and_b32_e32 v2, s55, v2
	s_delay_alu instid0(VALU_DEP_1)
	v_and_b32_e32 v3, 1, v2
	v_lshlrev_b32_e32 v37, 30, v2
	v_lshlrev_b32_e32 v38, 29, v2
	;; [unrolled: 1-line block ×4, first 2 shown]
	v_add_co_u32 v3, s18, v3, -1
	s_delay_alu instid0(VALU_DEP_1)
	v_cndmask_b32_e64 v40, 0, 1, s18
	v_not_b32_e32 v91, v37
	v_cmp_gt_i32_e64 s19, 0, v37
	v_not_b32_e32 v37, v38
	v_lshlrev_b32_e32 v89, 26, v2
	v_cmp_ne_u32_e64 s18, 0, v40
	v_ashrrev_i32_e32 v91, 31, v91
	v_lshlrev_b32_e32 v90, 25, v2
	v_ashrrev_i32_e32 v37, 31, v37
	v_lshlrev_b32_e32 v40, 24, v2
	v_xor_b32_e32 v3, s18, v3
	v_cmp_gt_i32_e64 s18, 0, v38
	v_not_b32_e32 v38, v39
	v_xor_b32_e32 v91, s19, v91
	v_cmp_gt_i32_e64 s19, 0, v39
	v_and_b32_e32 v3, exec_lo, v3
	v_not_b32_e32 v39, v41
	v_ashrrev_i32_e32 v38, 31, v38
	v_xor_b32_e32 v37, s18, v37
	v_cmp_gt_i32_e64 s18, 0, v41
	v_and_b32_e32 v3, v3, v91
	v_not_b32_e32 v41, v89
	v_ashrrev_i32_e32 v39, 31, v39
	v_xor_b32_e32 v38, s19, v38
	v_cmp_gt_i32_e64 s19, 0, v89
	v_and_b32_e32 v3, v3, v37
	;; [unrolled: 5-line block ×3, first 2 shown]
	v_not_b32_e32 v38, v40
	v_ashrrev_i32_e32 v37, 31, v37
	v_xor_b32_e32 v41, s19, v41
	v_lshl_add_u32 v2, v2, 3, v2
	v_and_b32_e32 v3, v3, v39
	v_cmp_gt_i32_e64 s19, 0, v40
	v_ashrrev_i32_e32 v38, 31, v38
	v_xor_b32_e32 v37, s18, v37
	v_add_lshl_u32 v91, v36, v2, 2
	v_and_b32_e32 v3, v3, v41
	s_delay_alu instid0(VALU_DEP_4) | instskip(SKIP_2) | instid1(VALU_DEP_1)
	v_xor_b32_e32 v2, s19, v38
	ds_load_b32 v89, v91 offset:32
	v_and_b32_e32 v3, v3, v37
	; wave barrier
	v_and_b32_e32 v2, v3, v2
	s_delay_alu instid0(VALU_DEP_1) | instskip(SKIP_1) | instid1(VALU_DEP_2)
	v_mbcnt_lo_u32_b32 v90, v2, 0
	v_cmp_ne_u32_e64 s19, 0, v2
	v_cmp_eq_u32_e64 s18, 0, v90
	s_delay_alu instid0(VALU_DEP_1) | instskip(NEXT) | instid1(SALU_CYCLE_1)
	s_and_b32 s19, s19, s18
	s_and_saveexec_b32 s18, s19
	s_cbranch_execz .LBB15_65
; %bb.64:
	s_waitcnt lgkmcnt(0)
	v_bcnt_u32_b32 v2, v2, v89
	ds_store_b32 v91, v2 offset:32
.LBB15_65:
	s_or_b32 exec_lo, exec_lo, s18
	; wave barrier
	s_waitcnt lgkmcnt(0)
	s_barrier
	buffer_gl0_inv
	ds_load_2addr_b32 v[40:41], v45 offset0:8 offset1:9
	ds_load_2addr_b32 v[38:39], v92 offset0:2 offset1:3
	ds_load_2addr_b32 v[36:37], v92 offset0:4 offset1:5
	ds_load_2addr_b32 v[2:3], v92 offset0:6 offset1:7
	ds_load_b32 v93, v92 offset:32
	v_bfe_i32 v96, v42, 4, 1
	s_mov_b32 s19, exec_lo
	s_waitcnt lgkmcnt(3)
	v_add3_u32 v94, v41, v40, v38
	s_waitcnt lgkmcnt(2)
	s_delay_alu instid0(VALU_DEP_1) | instskip(SKIP_1) | instid1(VALU_DEP_1)
	v_add3_u32 v94, v94, v39, v36
	s_waitcnt lgkmcnt(1)
	v_add3_u32 v94, v94, v37, v2
	s_waitcnt lgkmcnt(0)
	s_delay_alu instid0(VALU_DEP_1) | instskip(SKIP_1) | instid1(VALU_DEP_2)
	v_add3_u32 v93, v94, v3, v93
	v_and_b32_e32 v94, 15, v42
	v_mov_b32_dpp v95, v93 row_shr:1 row_mask:0xf bank_mask:0xf
	s_delay_alu instid0(VALU_DEP_2) | instskip(NEXT) | instid1(VALU_DEP_1)
	v_cmp_ne_u32_e64 s18, 0, v94
	v_cndmask_b32_e64 v95, 0, v95, s18
	v_cmp_lt_u32_e64 s18, 1, v94
	s_delay_alu instid0(VALU_DEP_2) | instskip(NEXT) | instid1(VALU_DEP_1)
	v_add_nc_u32_e32 v93, v95, v93
	v_mov_b32_dpp v95, v93 row_shr:2 row_mask:0xf bank_mask:0xf
	s_delay_alu instid0(VALU_DEP_1) | instskip(SKIP_1) | instid1(VALU_DEP_2)
	v_cndmask_b32_e64 v95, 0, v95, s18
	v_cmp_lt_u32_e64 s18, 3, v94
	v_add_nc_u32_e32 v93, v93, v95
	s_delay_alu instid0(VALU_DEP_1) | instskip(NEXT) | instid1(VALU_DEP_1)
	v_mov_b32_dpp v95, v93 row_shr:4 row_mask:0xf bank_mask:0xf
	v_cndmask_b32_e64 v95, 0, v95, s18
	v_cmp_lt_u32_e64 s18, 7, v94
	s_delay_alu instid0(VALU_DEP_2) | instskip(NEXT) | instid1(VALU_DEP_1)
	v_add_nc_u32_e32 v93, v93, v95
	v_mov_b32_dpp v95, v93 row_shr:8 row_mask:0xf bank_mask:0xf
	s_delay_alu instid0(VALU_DEP_1) | instskip(SKIP_1) | instid1(VALU_DEP_2)
	v_cndmask_b32_e64 v94, 0, v95, s18
	v_and_b32_e32 v95, 0x3e0, v1
	v_add_nc_u32_e32 v93, v93, v94
	s_delay_alu instid0(VALU_DEP_2)
	v_min_u32_e32 v95, 0xe0, v95
	ds_swizzle_b32 v94, v93 offset:swizzle(BROADCAST,32,15)
	v_or_b32_e32 v95, 31, v95
	s_waitcnt lgkmcnt(0)
	v_and_b32_e32 v96, v96, v94
	v_lshrrev_b32_e32 v94, 5, v1
	s_delay_alu instid0(VALU_DEP_2)
	v_add_nc_u32_e32 v93, v93, v96
	v_cmpx_eq_u32_e64 v95, v1
	s_cbranch_execz .LBB15_67
; %bb.66:
	s_delay_alu instid0(VALU_DEP_3)
	v_lshlrev_b32_e32 v95, 2, v94
	ds_store_b32 v95, v93
.LBB15_67:
	s_or_b32 exec_lo, exec_lo, s19
	s_delay_alu instid0(SALU_CYCLE_1)
	s_mov_b32 s19, exec_lo
	s_waitcnt lgkmcnt(0)
	s_barrier
	buffer_gl0_inv
	v_cmpx_gt_u32_e32 8, v1
	s_cbranch_execz .LBB15_69
; %bb.68:
	v_lshlrev_b32_e32 v95, 2, v1
	v_and_b32_e32 v97, 7, v42
	ds_load_b32 v96, v95
	v_cmp_ne_u32_e64 s18, 0, v97
	s_waitcnt lgkmcnt(0)
	v_mov_b32_dpp v98, v96 row_shr:1 row_mask:0xf bank_mask:0xf
	s_delay_alu instid0(VALU_DEP_1) | instskip(SKIP_1) | instid1(VALU_DEP_2)
	v_cndmask_b32_e64 v98, 0, v98, s18
	v_cmp_lt_u32_e64 s18, 1, v97
	v_add_nc_u32_e32 v96, v98, v96
	s_delay_alu instid0(VALU_DEP_1) | instskip(NEXT) | instid1(VALU_DEP_1)
	v_mov_b32_dpp v98, v96 row_shr:2 row_mask:0xf bank_mask:0xf
	v_cndmask_b32_e64 v98, 0, v98, s18
	v_cmp_lt_u32_e64 s18, 3, v97
	s_delay_alu instid0(VALU_DEP_2) | instskip(NEXT) | instid1(VALU_DEP_1)
	v_add_nc_u32_e32 v96, v96, v98
	v_mov_b32_dpp v98, v96 row_shr:4 row_mask:0xf bank_mask:0xf
	s_delay_alu instid0(VALU_DEP_1) | instskip(NEXT) | instid1(VALU_DEP_1)
	v_cndmask_b32_e64 v97, 0, v98, s18
	v_add_nc_u32_e32 v96, v96, v97
	ds_store_b32 v95, v96
.LBB15_69:
	s_or_b32 exec_lo, exec_lo, s19
	v_mov_b32_e32 v95, 0
	s_mov_b32 s19, exec_lo
	s_waitcnt lgkmcnt(0)
	s_barrier
	buffer_gl0_inv
	v_cmpx_lt_u32_e32 31, v1
	s_cbranch_execz .LBB15_71
; %bb.70:
	v_lshl_add_u32 v94, v94, 2, -4
	ds_load_b32 v95, v94
.LBB15_71:
	s_or_b32 exec_lo, exec_lo, s19
	v_add_nc_u32_e32 v94, -1, v42
	s_waitcnt lgkmcnt(0)
	v_add_nc_u32_e32 v93, v95, v93
	s_mov_b32 s19, 0
	s_mov_b32 s20, exec_lo
	v_cmp_gt_i32_e64 s18, 0, v94
	s_delay_alu instid0(VALU_DEP_1) | instskip(SKIP_1) | instid1(VALU_DEP_2)
	v_cndmask_b32_e64 v94, v94, v42, s18
	v_cmp_eq_u32_e64 s18, 0, v42
	v_lshlrev_b32_e32 v94, 2, v94
	ds_bpermute_b32 v93, v94, v93
	s_waitcnt lgkmcnt(0)
	v_cndmask_b32_e64 v93, v93, v95, s18
	v_cmp_ne_u32_e64 s18, 0, v1
	s_delay_alu instid0(VALU_DEP_1) | instskip(NEXT) | instid1(VALU_DEP_1)
	v_cndmask_b32_e64 v93, 0, v93, s18
	v_add_nc_u32_e32 v40, v93, v40
	s_delay_alu instid0(VALU_DEP_1) | instskip(NEXT) | instid1(VALU_DEP_1)
	v_add_nc_u32_e32 v41, v40, v41
	v_add_nc_u32_e32 v38, v41, v38
	s_delay_alu instid0(VALU_DEP_1) | instskip(NEXT) | instid1(VALU_DEP_1)
	v_add_nc_u32_e32 v39, v38, v39
	;; [unrolled: 3-line block ×3, first 2 shown]
	v_add_nc_u32_e32 v2, v37, v2
	s_delay_alu instid0(VALU_DEP_1)
	v_add_nc_u32_e32 v3, v2, v3
	ds_store_2addr_b32 v45, v93, v40 offset0:8 offset1:9
	ds_store_2addr_b32 v92, v41, v38 offset0:2 offset1:3
	;; [unrolled: 1-line block ×4, first 2 shown]
	ds_store_b32 v92, v3 offset:32
	v_mov_b32_e32 v2, 0x1000
	s_waitcnt lgkmcnt(0)
	s_barrier
	buffer_gl0_inv
	ds_load_b32 v37, v49 offset:32
	ds_load_b32 v38, v52 offset:32
	;; [unrolled: 1-line block ×17, first 2 shown]
	v_add_nc_u32_e32 v45, 1, v1
	s_delay_alu instid0(VALU_DEP_1)
	v_cmpx_ne_u32_e32 0x100, v45
	s_cbranch_execz .LBB15_73
; %bb.72:
	v_mul_u32_u24_e32 v2, 9, v45
	s_delay_alu instid0(VALU_DEP_1)
	v_lshlrev_b32_e32 v2, 2, v2
	ds_load_b32 v2, v2 offset:32
.LBB15_73:
	s_or_b32 exec_lo, exec_lo, s20
	s_waitcnt lgkmcnt(1)
	v_add_nc_u32_e32 v36, v36, v44
	v_add3_u32 v37, v48, v47, v37
	v_add3_u32 v38, v51, v50, v38
	;; [unrolled: 1-line block ×4, first 2 shown]
	v_lshlrev_b32_e32 v54, 3, v36
	v_lshlrev_b32_e32 v55, 3, v37
	v_add3_u32 v40, v57, v56, v40
	v_add3_u32 v41, v60, v59, v41
	;; [unrolled: 1-line block ×4, first 2 shown]
	s_waitcnt lgkmcnt(0)
	s_barrier
	buffer_gl0_inv
	ds_store_b64 v54, v[4:5] offset:2048
	ds_store_b64 v55, v[6:7] offset:2048
	v_lshlrev_b32_e32 v4, 3, v38
	v_lshlrev_b32_e32 v5, 3, v39
	v_add3_u32 v47, v72, v71, v58
	v_lshlrev_b32_e32 v6, 3, v40
	v_add3_u32 v48, v75, v74, v61
	;; [unrolled: 2-line block ×4, first 2 shown]
	ds_store_b64 v4, v[8:9] offset:2048
	ds_store_b64 v5, v[10:11] offset:2048
	;; [unrolled: 1-line block ×5, first 2 shown]
	v_lshlrev_b32_e32 v4, 3, v45
	v_add3_u32 v51, v84, v83, v70
	v_lshlrev_b32_e32 v5, 3, v46
	v_lshlrev_b32_e32 v6, 3, v47
	;; [unrolled: 1-line block ×4, first 2 shown]
	ds_store_b64 v4, v[28:29] offset:2048
	ds_store_b64 v5, v[32:33] offset:2048
	;; [unrolled: 1-line block ×5, first 2 shown]
	v_lshlrev_b32_e32 v6, 3, v50
	v_lshl_add_u32 v4, s15, 8, v1
	v_mov_b32_e32 v5, 0
	v_lshlrev_b32_e32 v7, 3, v51
	ds_store_b64 v6, v[18:19] offset:2048
	ds_store_b64 v7, v[14:15] offset:2048
	v_lshlrev_b64 v[6:7], 2, v[4:5]
	v_add3_u32 v52, v87, v86, v73
	v_sub_nc_u32_e32 v10, v2, v3
	v_mov_b32_e32 v2, 0
	v_add3_u32 v53, v90, v89, v76
	s_mov_b32 s20, s54
	v_add_co_u32 v6, s18, s52, v6
	v_lshlrev_b32_e32 v8, 3, v52
	v_add_co_ci_u32_e64 v7, s18, s53, v7, s18
	v_or_b32_e32 v4, 2.0, v10
	v_lshlrev_b32_e32 v9, 3, v53
	ds_store_b64 v8, v[12:13] offset:2048
	ds_store_b64 v9, v[34:35] offset:2048
	s_waitcnt lgkmcnt(0)
	s_barrier
	buffer_gl0_inv
	global_store_b32 v[6:7], v4, off
                                        ; implicit-def: $sgpr18
	s_branch .LBB15_75
	.p2align	6
.LBB15_74:                              ;   in Loop: Header=BB15_75 Depth=1
	s_or_b32 exec_lo, exec_lo, s21
	v_and_b32_e32 v8, 0x3fffffff, v11
	v_cmp_eq_u32_e64 s18, 0x80000000, v4
	s_delay_alu instid0(VALU_DEP_2) | instskip(NEXT) | instid1(VALU_DEP_2)
	v_add_nc_u32_e32 v2, v8, v2
	s_and_b32 s21, exec_lo, s18
	s_delay_alu instid0(SALU_CYCLE_1) | instskip(NEXT) | instid1(SALU_CYCLE_1)
	s_or_b32 s19, s21, s19
	s_and_not1_b32 exec_lo, exec_lo, s19
	s_cbranch_execz .LBB15_81
.LBB15_75:                              ; =>This Loop Header: Depth=1
                                        ;     Child Loop BB15_78 Depth 2
	s_or_b32 s18, s18, exec_lo
	s_cmp_eq_u32 s20, 0
	s_cbranch_scc1 .LBB15_80
; %bb.76:                               ;   in Loop: Header=BB15_75 Depth=1
	s_add_i32 s20, s20, -1
	s_mov_b32 s21, exec_lo
	v_lshl_add_u32 v4, s20, 8, v1
	s_delay_alu instid0(VALU_DEP_1) | instskip(NEXT) | instid1(VALU_DEP_1)
	v_lshlrev_b64 v[8:9], 2, v[4:5]
	v_add_co_u32 v8, s18, s52, v8
	s_delay_alu instid0(VALU_DEP_1) | instskip(SKIP_3) | instid1(VALU_DEP_1)
	v_add_co_ci_u32_e64 v9, s18, s53, v9, s18
	global_load_b32 v11, v[8:9], off glc
	s_waitcnt vmcnt(0)
	v_and_b32_e32 v4, -2.0, v11
	v_cmpx_eq_u32_e32 0, v4
	s_cbranch_execz .LBB15_74
; %bb.77:                               ;   in Loop: Header=BB15_75 Depth=1
	s_mov_b32 s22, 0
.LBB15_78:                              ;   Parent Loop BB15_75 Depth=1
                                        ; =>  This Inner Loop Header: Depth=2
	global_load_b32 v11, v[8:9], off glc
	s_waitcnt vmcnt(0)
	v_and_b32_e32 v4, -2.0, v11
	s_delay_alu instid0(VALU_DEP_1) | instskip(NEXT) | instid1(VALU_DEP_1)
	v_cmp_ne_u32_e64 s18, 0, v4
	s_or_b32 s22, s18, s22
	s_delay_alu instid0(SALU_CYCLE_1)
	s_and_not1_b32 exec_lo, exec_lo, s22
	s_cbranch_execnz .LBB15_78
; %bb.79:                               ;   in Loop: Header=BB15_75 Depth=1
	s_or_b32 exec_lo, exec_lo, s22
	s_branch .LBB15_74
.LBB15_80:                              ;   in Loop: Header=BB15_75 Depth=1
                                        ; implicit-def: $sgpr20
	s_and_b32 s21, exec_lo, s18
	s_delay_alu instid0(SALU_CYCLE_1) | instskip(NEXT) | instid1(SALU_CYCLE_1)
	s_or_b32 s19, s21, s19
	s_and_not1_b32 exec_lo, exec_lo, s19
	s_cbranch_execnz .LBB15_75
.LBB15_81:
	s_or_b32 exec_lo, exec_lo, s19
	v_add_nc_u32_e32 v4, v2, v10
	v_lshlrev_b32_e32 v8, 3, v1
	s_delay_alu instid0(VALU_DEP_2) | instskip(SKIP_3) | instid1(VALU_DEP_1)
	v_or_b32_e32 v4, 0x80000000, v4
	global_store_b32 v[6:7], v4, off
	global_load_b64 v[4:5], v8, s[44:45]
	v_sub_co_u32 v6, s18, v2, v3
	v_sub_co_ci_u32_e64 v7, null, 0, 0, s18
	v_mov_b32_e32 v2, 0
	s_waitcnt vmcnt(0)
	s_delay_alu instid0(VALU_DEP_3) | instskip(NEXT) | instid1(VALU_DEP_1)
	v_add_co_u32 v6, s18, v6, v4
	v_add_co_ci_u32_e64 v7, s18, v7, v5, s18
	v_cmp_gt_u32_e64 s18, s35, v1
	v_mov_b32_e32 v4, v2
	ds_store_b64 v8, v[6:7]
	s_waitcnt lgkmcnt(0)
	s_waitcnt_vscnt null, 0x0
	s_barrier
	buffer_gl0_inv
	s_and_saveexec_b32 s20, s18
	s_cbranch_execz .LBB15_83
; %bb.82:
	ds_load_b64 v[5:6], v8 offset:2048
	s_waitcnt lgkmcnt(0)
	v_lshrrev_b64 v[11:12], s48, v[5:6]
	v_xor_b32_e32 v6, 0x7fffffff, v6
	v_not_b32_e32 v5, v5
	s_delay_alu instid0(VALU_DEP_3) | instskip(NEXT) | instid1(VALU_DEP_1)
	v_and_b32_e32 v7, s55, v11
	v_lshlrev_b32_e32 v7, 3, v7
	ds_load_b64 v[11:12], v7
	s_waitcnt lgkmcnt(0)
	v_lshlrev_b64 v[11:12], 3, v[11:12]
	s_delay_alu instid0(VALU_DEP_1) | instskip(NEXT) | instid1(VALU_DEP_1)
	v_add_co_u32 v7, s19, s38, v11
	v_add_co_ci_u32_e64 v9, s19, s39, v12, s19
	s_delay_alu instid0(VALU_DEP_2) | instskip(NEXT) | instid1(VALU_DEP_1)
	v_add_co_u32 v11, s19, v7, v8
	v_add_co_ci_u32_e64 v12, s19, 0, v9, s19
	global_store_b64 v[11:12], v[5:6], off
.LBB15_83:
	s_or_b32 exec_lo, exec_lo, s20
	v_add_nc_u32_e32 v5, 0x100, v1
	s_delay_alu instid0(VALU_DEP_1) | instskip(NEXT) | instid1(VALU_DEP_1)
	v_cmp_gt_u32_e64 s19, s35, v5
	s_and_saveexec_b32 s21, s19
	s_cbranch_execz .LBB15_85
; %bb.84:
	v_lshlrev_b32_e32 v7, 3, v1
	ds_load_b64 v[5:6], v7 offset:4096
	s_waitcnt lgkmcnt(0)
	v_lshrrev_b64 v[11:12], s48, v[5:6]
	v_xor_b32_e32 v6, 0x7fffffff, v6
	v_not_b32_e32 v5, v5
	s_delay_alu instid0(VALU_DEP_3) | instskip(NEXT) | instid1(VALU_DEP_1)
	v_and_b32_e32 v9, s55, v11
	v_lshlrev_b32_e32 v9, 3, v9
	ds_load_b64 v[11:12], v9
	s_waitcnt lgkmcnt(0)
	v_lshlrev_b64 v[11:12], 3, v[11:12]
	s_delay_alu instid0(VALU_DEP_1) | instskip(NEXT) | instid1(VALU_DEP_1)
	v_add_co_u32 v9, s20, s38, v11
	v_add_co_ci_u32_e64 v12, s20, s39, v12, s20
	s_delay_alu instid0(VALU_DEP_2) | instskip(NEXT) | instid1(VALU_DEP_1)
	v_add_co_u32 v11, s20, v9, v7
	v_add_co_ci_u32_e64 v12, s20, 0, v12, s20
	global_store_b64 v[11:12], v[5:6], off offset:2048
.LBB15_85:
	s_or_b32 exec_lo, exec_lo, s21
	v_add_nc_u32_e32 v5, 0x200, v1
	s_delay_alu instid0(VALU_DEP_1) | instskip(NEXT) | instid1(VALU_DEP_1)
	v_cmp_gt_u32_e64 s20, s35, v5
	s_and_saveexec_b32 s22, s20
	s_cbranch_execz .LBB15_87
; %bb.86:
	v_lshlrev_b32_e32 v6, 3, v1
	v_lshlrev_b32_e32 v5, 3, v5
	ds_load_b64 v[6:7], v6 offset:6144
	s_waitcnt lgkmcnt(0)
	v_lshrrev_b64 v[11:12], s48, v[6:7]
	v_xor_b32_e32 v7, 0x7fffffff, v7
	v_not_b32_e32 v6, v6
	s_delay_alu instid0(VALU_DEP_3) | instskip(NEXT) | instid1(VALU_DEP_1)
	v_and_b32_e32 v9, s55, v11
	v_lshlrev_b32_e32 v9, 3, v9
	ds_load_b64 v[11:12], v9
	s_waitcnt lgkmcnt(0)
	v_lshlrev_b64 v[11:12], 3, v[11:12]
	s_delay_alu instid0(VALU_DEP_1) | instskip(NEXT) | instid1(VALU_DEP_1)
	v_add_co_u32 v9, s21, s38, v11
	v_add_co_ci_u32_e64 v12, s21, s39, v12, s21
	s_delay_alu instid0(VALU_DEP_2) | instskip(NEXT) | instid1(VALU_DEP_1)
	v_add_co_u32 v11, s21, v9, v5
	v_add_co_ci_u32_e64 v12, s21, 0, v12, s21
	global_store_b64 v[11:12], v[6:7], off
.LBB15_87:
	s_or_b32 exec_lo, exec_lo, s22
	v_add_nc_u32_e32 v5, 0x300, v1
	s_delay_alu instid0(VALU_DEP_1) | instskip(NEXT) | instid1(VALU_DEP_1)
	v_cmp_gt_u32_e64 s21, s35, v5
	s_and_saveexec_b32 s23, s21
	s_cbranch_execz .LBB15_89
; %bb.88:
	v_lshlrev_b32_e32 v6, 3, v1
	v_lshlrev_b32_e32 v5, 3, v5
	ds_load_b64 v[6:7], v6 offset:8192
	s_waitcnt lgkmcnt(0)
	v_lshrrev_b64 v[11:12], s48, v[6:7]
	v_xor_b32_e32 v7, 0x7fffffff, v7
	v_not_b32_e32 v6, v6
	s_delay_alu instid0(VALU_DEP_3) | instskip(NEXT) | instid1(VALU_DEP_1)
	v_and_b32_e32 v9, s55, v11
	v_lshlrev_b32_e32 v9, 3, v9
	ds_load_b64 v[11:12], v9
	s_waitcnt lgkmcnt(0)
	v_lshlrev_b64 v[11:12], 3, v[11:12]
	s_delay_alu instid0(VALU_DEP_1) | instskip(NEXT) | instid1(VALU_DEP_1)
	v_add_co_u32 v9, s22, s38, v11
	v_add_co_ci_u32_e64 v12, s22, s39, v12, s22
	s_delay_alu instid0(VALU_DEP_2) | instskip(NEXT) | instid1(VALU_DEP_1)
	v_add_co_u32 v11, s22, v9, v5
	v_add_co_ci_u32_e64 v12, s22, 0, v12, s22
	global_store_b64 v[11:12], v[6:7], off
.LBB15_89:
	s_or_b32 exec_lo, exec_lo, s23
	v_or_b32_e32 v5, 0x400, v1
	s_delay_alu instid0(VALU_DEP_1) | instskip(NEXT) | instid1(VALU_DEP_1)
	v_cmp_gt_u32_e64 s22, s35, v5
	s_and_saveexec_b32 s24, s22
	s_cbranch_execz .LBB15_91
; %bb.90:
	v_lshlrev_b32_e32 v6, 3, v1
	v_lshlrev_b32_e32 v5, 3, v5
	ds_load_b64 v[6:7], v6 offset:10240
	s_waitcnt lgkmcnt(0)
	v_lshrrev_b64 v[11:12], s48, v[6:7]
	v_xor_b32_e32 v7, 0x7fffffff, v7
	v_not_b32_e32 v6, v6
	s_delay_alu instid0(VALU_DEP_3) | instskip(NEXT) | instid1(VALU_DEP_1)
	v_and_b32_e32 v9, s55, v11
	v_lshlrev_b32_e32 v9, 3, v9
	ds_load_b64 v[11:12], v9
	s_waitcnt lgkmcnt(0)
	v_lshlrev_b64 v[11:12], 3, v[11:12]
	s_delay_alu instid0(VALU_DEP_1) | instskip(NEXT) | instid1(VALU_DEP_1)
	v_add_co_u32 v9, s23, s38, v11
	v_add_co_ci_u32_e64 v12, s23, s39, v12, s23
	s_delay_alu instid0(VALU_DEP_2) | instskip(NEXT) | instid1(VALU_DEP_1)
	v_add_co_u32 v11, s23, v9, v5
	v_add_co_ci_u32_e64 v12, s23, 0, v12, s23
	global_store_b64 v[11:12], v[6:7], off
.LBB15_91:
	s_or_b32 exec_lo, exec_lo, s24
	v_add_nc_u32_e32 v5, 0x500, v1
	s_delay_alu instid0(VALU_DEP_1) | instskip(NEXT) | instid1(VALU_DEP_1)
	v_cmp_gt_u32_e64 s23, s35, v5
	s_and_saveexec_b32 s25, s23
	s_cbranch_execz .LBB15_93
; %bb.92:
	v_lshlrev_b32_e32 v6, 3, v1
	v_lshlrev_b32_e32 v5, 3, v5
	ds_load_b64 v[6:7], v6 offset:12288
	s_waitcnt lgkmcnt(0)
	v_lshrrev_b64 v[11:12], s48, v[6:7]
	v_xor_b32_e32 v7, 0x7fffffff, v7
	v_not_b32_e32 v6, v6
	s_delay_alu instid0(VALU_DEP_3) | instskip(NEXT) | instid1(VALU_DEP_1)
	v_and_b32_e32 v9, s55, v11
	v_lshlrev_b32_e32 v9, 3, v9
	ds_load_b64 v[11:12], v9
	s_waitcnt lgkmcnt(0)
	v_lshlrev_b64 v[11:12], 3, v[11:12]
	s_delay_alu instid0(VALU_DEP_1) | instskip(NEXT) | instid1(VALU_DEP_1)
	v_add_co_u32 v9, s24, s38, v11
	v_add_co_ci_u32_e64 v12, s24, s39, v12, s24
	s_delay_alu instid0(VALU_DEP_2) | instskip(NEXT) | instid1(VALU_DEP_1)
	v_add_co_u32 v11, s24, v9, v5
	v_add_co_ci_u32_e64 v12, s24, 0, v12, s24
	global_store_b64 v[11:12], v[6:7], off
.LBB15_93:
	s_or_b32 exec_lo, exec_lo, s25
	v_add_nc_u32_e32 v5, 0x600, v1
	;; [unrolled: 28-line block ×3, first 2 shown]
	s_delay_alu instid0(VALU_DEP_1) | instskip(NEXT) | instid1(VALU_DEP_1)
	v_cmp_gt_u32_e64 s25, s35, v5
	s_and_saveexec_b32 s27, s25
	s_cbranch_execz .LBB15_97
; %bb.96:
	v_lshlrev_b32_e32 v6, 3, v1
	v_lshlrev_b32_e32 v5, 3, v5
	ds_load_b64 v[6:7], v6 offset:16384
	s_waitcnt lgkmcnt(0)
	v_lshrrev_b64 v[11:12], s48, v[6:7]
	v_xor_b32_e32 v7, 0x7fffffff, v7
	v_not_b32_e32 v6, v6
	s_delay_alu instid0(VALU_DEP_3) | instskip(NEXT) | instid1(VALU_DEP_1)
	v_and_b32_e32 v9, s55, v11
	v_lshlrev_b32_e32 v9, 3, v9
	ds_load_b64 v[11:12], v9
	s_waitcnt lgkmcnt(0)
	v_lshlrev_b64 v[11:12], 3, v[11:12]
	s_delay_alu instid0(VALU_DEP_1) | instskip(NEXT) | instid1(VALU_DEP_1)
	v_add_co_u32 v9, s26, s38, v11
	v_add_co_ci_u32_e64 v12, s26, s39, v12, s26
	s_delay_alu instid0(VALU_DEP_2) | instskip(NEXT) | instid1(VALU_DEP_1)
	v_add_co_u32 v11, s26, v9, v5
	v_add_co_ci_u32_e64 v12, s26, 0, v12, s26
	global_store_b64 v[11:12], v[6:7], off
.LBB15_97:
	s_or_b32 exec_lo, exec_lo, s27
	v_or_b32_e32 v5, 0x800, v1
	s_delay_alu instid0(VALU_DEP_1) | instskip(NEXT) | instid1(VALU_DEP_1)
	v_cmp_gt_u32_e64 s26, s35, v5
	s_and_saveexec_b32 s28, s26
	s_cbranch_execz .LBB15_99
; %bb.98:
	v_lshlrev_b32_e32 v6, 3, v1
	v_lshlrev_b32_e32 v5, 3, v5
	ds_load_b64 v[6:7], v6 offset:18432
	s_waitcnt lgkmcnt(0)
	v_lshrrev_b64 v[11:12], s48, v[6:7]
	v_xor_b32_e32 v7, 0x7fffffff, v7
	v_not_b32_e32 v6, v6
	s_delay_alu instid0(VALU_DEP_3) | instskip(NEXT) | instid1(VALU_DEP_1)
	v_and_b32_e32 v9, s55, v11
	v_lshlrev_b32_e32 v9, 3, v9
	ds_load_b64 v[11:12], v9
	s_waitcnt lgkmcnt(0)
	v_lshlrev_b64 v[11:12], 3, v[11:12]
	s_delay_alu instid0(VALU_DEP_1) | instskip(NEXT) | instid1(VALU_DEP_1)
	v_add_co_u32 v9, s27, s38, v11
	v_add_co_ci_u32_e64 v12, s27, s39, v12, s27
	s_delay_alu instid0(VALU_DEP_2) | instskip(NEXT) | instid1(VALU_DEP_1)
	v_add_co_u32 v11, s27, v9, v5
	v_add_co_ci_u32_e64 v12, s27, 0, v12, s27
	global_store_b64 v[11:12], v[6:7], off
.LBB15_99:
	s_or_b32 exec_lo, exec_lo, s28
	v_add_nc_u32_e32 v5, 0x900, v1
	s_delay_alu instid0(VALU_DEP_1) | instskip(NEXT) | instid1(VALU_DEP_1)
	v_cmp_gt_u32_e64 s27, s35, v5
	s_and_saveexec_b32 s29, s27
	s_cbranch_execz .LBB15_101
; %bb.100:
	v_lshlrev_b32_e32 v6, 3, v1
	v_lshlrev_b32_e32 v5, 3, v5
	ds_load_b64 v[6:7], v6 offset:20480
	s_waitcnt lgkmcnt(0)
	v_lshrrev_b64 v[11:12], s48, v[6:7]
	v_xor_b32_e32 v7, 0x7fffffff, v7
	v_not_b32_e32 v6, v6
	s_delay_alu instid0(VALU_DEP_3) | instskip(NEXT) | instid1(VALU_DEP_1)
	v_and_b32_e32 v9, s55, v11
	v_lshlrev_b32_e32 v9, 3, v9
	ds_load_b64 v[11:12], v9
	s_waitcnt lgkmcnt(0)
	v_lshlrev_b64 v[11:12], 3, v[11:12]
	s_delay_alu instid0(VALU_DEP_1) | instskip(NEXT) | instid1(VALU_DEP_1)
	v_add_co_u32 v9, s28, s38, v11
	v_add_co_ci_u32_e64 v12, s28, s39, v12, s28
	s_delay_alu instid0(VALU_DEP_2) | instskip(NEXT) | instid1(VALU_DEP_1)
	v_add_co_u32 v11, s28, v9, v5
	v_add_co_ci_u32_e64 v12, s28, 0, v12, s28
	global_store_b64 v[11:12], v[6:7], off
.LBB15_101:
	s_or_b32 exec_lo, exec_lo, s29
	v_add_nc_u32_e32 v5, 0xa00, v1
	;; [unrolled: 28-line block ×3, first 2 shown]
	s_delay_alu instid0(VALU_DEP_1) | instskip(NEXT) | instid1(VALU_DEP_1)
	v_cmp_gt_u32_e64 s29, s35, v5
	s_and_saveexec_b32 s31, s29
	s_cbranch_execz .LBB15_105
; %bb.104:
	v_lshlrev_b32_e32 v6, 3, v1
	v_lshlrev_b32_e32 v5, 3, v5
	ds_load_b64 v[6:7], v6 offset:24576
	s_waitcnt lgkmcnt(0)
	v_lshrrev_b64 v[11:12], s48, v[6:7]
	v_xor_b32_e32 v7, 0x7fffffff, v7
	v_not_b32_e32 v6, v6
	s_delay_alu instid0(VALU_DEP_3) | instskip(NEXT) | instid1(VALU_DEP_1)
	v_and_b32_e32 v9, s55, v11
	v_lshlrev_b32_e32 v9, 3, v9
	ds_load_b64 v[11:12], v9
	s_waitcnt lgkmcnt(0)
	v_lshlrev_b64 v[11:12], 3, v[11:12]
	s_delay_alu instid0(VALU_DEP_1) | instskip(NEXT) | instid1(VALU_DEP_1)
	v_add_co_u32 v9, s30, s38, v11
	v_add_co_ci_u32_e64 v12, s30, s39, v12, s30
	s_delay_alu instid0(VALU_DEP_2) | instskip(NEXT) | instid1(VALU_DEP_1)
	v_add_co_u32 v11, s30, v9, v5
	v_add_co_ci_u32_e64 v12, s30, 0, v12, s30
	global_store_b64 v[11:12], v[6:7], off
.LBB15_105:
	s_or_b32 exec_lo, exec_lo, s31
	v_or_b32_e32 v5, 0xc00, v1
	s_delay_alu instid0(VALU_DEP_1) | instskip(NEXT) | instid1(VALU_DEP_1)
	v_cmp_gt_u32_e64 s30, s35, v5
	s_and_saveexec_b32 s33, s30
	s_cbranch_execz .LBB15_107
; %bb.106:
	v_lshlrev_b32_e32 v6, 3, v1
	v_lshlrev_b32_e32 v5, 3, v5
	ds_load_b64 v[6:7], v6 offset:26624
	s_waitcnt lgkmcnt(0)
	v_lshrrev_b64 v[11:12], s48, v[6:7]
	v_xor_b32_e32 v7, 0x7fffffff, v7
	v_not_b32_e32 v6, v6
	s_delay_alu instid0(VALU_DEP_3) | instskip(NEXT) | instid1(VALU_DEP_1)
	v_and_b32_e32 v9, s55, v11
	v_lshlrev_b32_e32 v9, 3, v9
	ds_load_b64 v[11:12], v9
	s_waitcnt lgkmcnt(0)
	v_lshlrev_b64 v[11:12], 3, v[11:12]
	s_delay_alu instid0(VALU_DEP_1) | instskip(NEXT) | instid1(VALU_DEP_1)
	v_add_co_u32 v9, s31, s38, v11
	v_add_co_ci_u32_e64 v12, s31, s39, v12, s31
	s_delay_alu instid0(VALU_DEP_2) | instskip(NEXT) | instid1(VALU_DEP_1)
	v_add_co_u32 v11, s31, v9, v5
	v_add_co_ci_u32_e64 v12, s31, 0, v12, s31
	global_store_b64 v[11:12], v[6:7], off
.LBB15_107:
	s_or_b32 exec_lo, exec_lo, s33
	v_add_nc_u32_e32 v5, 0xd00, v1
	s_delay_alu instid0(VALU_DEP_1) | instskip(NEXT) | instid1(VALU_DEP_1)
	v_cmp_gt_u32_e64 s31, s35, v5
	s_and_saveexec_b32 s34, s31
	s_cbranch_execz .LBB15_109
; %bb.108:
	v_lshlrev_b32_e32 v6, 3, v1
	v_lshlrev_b32_e32 v5, 3, v5
	ds_load_b64 v[6:7], v6 offset:28672
	s_waitcnt lgkmcnt(0)
	v_lshrrev_b64 v[11:12], s48, v[6:7]
	v_xor_b32_e32 v7, 0x7fffffff, v7
	v_not_b32_e32 v6, v6
	s_delay_alu instid0(VALU_DEP_3) | instskip(NEXT) | instid1(VALU_DEP_1)
	v_and_b32_e32 v9, s55, v11
	v_lshlrev_b32_e32 v9, 3, v9
	ds_load_b64 v[11:12], v9
	s_waitcnt lgkmcnt(0)
	v_lshlrev_b64 v[11:12], 3, v[11:12]
	s_delay_alu instid0(VALU_DEP_1) | instskip(NEXT) | instid1(VALU_DEP_1)
	v_add_co_u32 v9, s33, s38, v11
	v_add_co_ci_u32_e64 v12, s33, s39, v12, s33
	s_delay_alu instid0(VALU_DEP_2) | instskip(NEXT) | instid1(VALU_DEP_1)
	v_add_co_u32 v11, s33, v9, v5
	v_add_co_ci_u32_e64 v12, s33, 0, v12, s33
	global_store_b64 v[11:12], v[6:7], off
.LBB15_109:
	s_or_b32 exec_lo, exec_lo, s34
	v_add_nc_u32_e32 v5, 0xe00, v1
	;; [unrolled: 28-line block ×3, first 2 shown]
	s_delay_alu instid0(VALU_DEP_1) | instskip(NEXT) | instid1(VALU_DEP_1)
	v_cmp_gt_u32_e64 s34, s35, v5
	s_and_saveexec_b32 s56, s34
	s_cbranch_execz .LBB15_113
; %bb.112:
	v_lshlrev_b32_e32 v6, 3, v1
	v_lshlrev_b32_e32 v5, 3, v5
	ds_load_b64 v[6:7], v6 offset:32768
	s_waitcnt lgkmcnt(0)
	v_lshrrev_b64 v[11:12], s48, v[6:7]
	v_xor_b32_e32 v7, 0x7fffffff, v7
	v_not_b32_e32 v6, v6
	s_delay_alu instid0(VALU_DEP_3) | instskip(NEXT) | instid1(VALU_DEP_1)
	v_and_b32_e32 v9, s55, v11
	v_lshlrev_b32_e32 v9, 3, v9
	ds_load_b64 v[11:12], v9
	s_waitcnt lgkmcnt(0)
	v_lshlrev_b64 v[11:12], 3, v[11:12]
	s_delay_alu instid0(VALU_DEP_1) | instskip(NEXT) | instid1(VALU_DEP_1)
	v_add_co_u32 v9, s35, s38, v11
	v_add_co_ci_u32_e64 v12, s35, s39, v12, s35
	s_delay_alu instid0(VALU_DEP_2) | instskip(NEXT) | instid1(VALU_DEP_1)
	v_add_co_u32 v11, s35, v9, v5
	v_add_co_ci_u32_e64 v12, s35, 0, v12, s35
	global_store_b64 v[11:12], v[6:7], off
.LBB15_113:
	s_or_b32 exec_lo, exec_lo, s56
	s_add_u32 s35, s40, s50
	s_addc_u32 s50, s41, 0
	v_add_co_u32 v5, s35, s35, v42
	s_delay_alu instid0(VALU_DEP_1) | instskip(NEXT) | instid1(VALU_DEP_2)
	v_add_co_ci_u32_e64 v6, null, s50, 0, s35
                                        ; implicit-def: $vgpr7
	v_add_co_u32 v5, s35, v5, v43
	s_delay_alu instid0(VALU_DEP_1) | instskip(SKIP_1) | instid1(SALU_CYCLE_1)
	v_add_co_ci_u32_e64 v6, s35, 0, v6, s35
	s_and_saveexec_b32 s35, vcc_lo
	s_xor_b32 s35, exec_lo, s35
	s_cbranch_execnz .LBB15_217
; %bb.114:
	s_or_b32 exec_lo, exec_lo, s35
                                        ; implicit-def: $vgpr9
	s_and_saveexec_b32 s35, s2
	s_cbranch_execnz .LBB15_218
.LBB15_115:
	s_or_b32 exec_lo, exec_lo, s35
                                        ; implicit-def: $vgpr11
	s_and_saveexec_b32 s2, s3
	s_cbranch_execnz .LBB15_219
.LBB15_116:
	s_or_b32 exec_lo, exec_lo, s2
                                        ; implicit-def: $vgpr12
	s_and_saveexec_b32 s2, s4
	s_cbranch_execnz .LBB15_220
.LBB15_117:
	s_or_b32 exec_lo, exec_lo, s2
                                        ; implicit-def: $vgpr13
	s_and_saveexec_b32 s2, s5
	s_cbranch_execnz .LBB15_221
.LBB15_118:
	s_or_b32 exec_lo, exec_lo, s2
                                        ; implicit-def: $vgpr14
	s_and_saveexec_b32 s2, s6
	s_cbranch_execnz .LBB15_222
.LBB15_119:
	s_or_b32 exec_lo, exec_lo, s2
                                        ; implicit-def: $vgpr15
	s_and_saveexec_b32 s2, s7
	s_cbranch_execnz .LBB15_223
.LBB15_120:
	s_or_b32 exec_lo, exec_lo, s2
                                        ; implicit-def: $vgpr16
	s_and_saveexec_b32 s2, s8
	s_cbranch_execnz .LBB15_224
.LBB15_121:
	s_or_b32 exec_lo, exec_lo, s2
                                        ; implicit-def: $vgpr17
	s_and_saveexec_b32 s2, s9
	s_cbranch_execnz .LBB15_225
.LBB15_122:
	s_or_b32 exec_lo, exec_lo, s2
                                        ; implicit-def: $vgpr18
	s_and_saveexec_b32 s2, s10
	s_cbranch_execnz .LBB15_226
.LBB15_123:
	s_or_b32 exec_lo, exec_lo, s2
                                        ; implicit-def: $vgpr19
	s_and_saveexec_b32 s2, s11
	s_cbranch_execnz .LBB15_227
.LBB15_124:
	s_or_b32 exec_lo, exec_lo, s2
                                        ; implicit-def: $vgpr22
	s_and_saveexec_b32 s2, s12
	s_cbranch_execnz .LBB15_228
.LBB15_125:
	s_or_b32 exec_lo, exec_lo, s2
                                        ; implicit-def: $vgpr25
	s_and_saveexec_b32 s2, s13
	s_cbranch_execnz .LBB15_229
.LBB15_126:
	s_or_b32 exec_lo, exec_lo, s2
                                        ; implicit-def: $vgpr29
	s_and_saveexec_b32 s2, s14
	s_cbranch_execnz .LBB15_230
.LBB15_127:
	s_or_b32 exec_lo, exec_lo, s2
                                        ; implicit-def: $vgpr33
	s_and_saveexec_b32 s2, s16
	s_cbranch_execnz .LBB15_231
.LBB15_128:
	s_or_b32 exec_lo, exec_lo, s2
                                        ; implicit-def: $vgpr54
	s_and_saveexec_b32 s2, s17
	s_cbranch_execnz .LBB15_232
.LBB15_129:
	s_or_b32 exec_lo, exec_lo, s2
                                        ; implicit-def: $vgpr55
	s_and_saveexec_b32 s2, s18
	s_cbranch_execnz .LBB15_233
.LBB15_130:
	s_or_b32 exec_lo, exec_lo, s2
                                        ; implicit-def: $vgpr43
	s_and_saveexec_b32 s2, s19
	s_cbranch_execnz .LBB15_234
.LBB15_131:
	s_or_b32 exec_lo, exec_lo, s2
                                        ; implicit-def: $vgpr35
	s_and_saveexec_b32 s2, s20
	s_cbranch_execnz .LBB15_235
.LBB15_132:
	s_or_b32 exec_lo, exec_lo, s2
                                        ; implicit-def: $vgpr34
	s_and_saveexec_b32 s2, s21
	s_cbranch_execnz .LBB15_236
.LBB15_133:
	s_or_b32 exec_lo, exec_lo, s2
                                        ; implicit-def: $vgpr32
	s_and_saveexec_b32 s2, s22
	s_cbranch_execnz .LBB15_237
.LBB15_134:
	s_or_b32 exec_lo, exec_lo, s2
                                        ; implicit-def: $vgpr31
	s_and_saveexec_b32 s2, s23
	s_cbranch_execnz .LBB15_238
.LBB15_135:
	s_or_b32 exec_lo, exec_lo, s2
                                        ; implicit-def: $vgpr30
	s_and_saveexec_b32 s2, s24
	s_cbranch_execnz .LBB15_239
.LBB15_136:
	s_or_b32 exec_lo, exec_lo, s2
                                        ; implicit-def: $vgpr28
	s_and_saveexec_b32 s2, s25
	s_cbranch_execnz .LBB15_240
.LBB15_137:
	s_or_b32 exec_lo, exec_lo, s2
                                        ; implicit-def: $vgpr27
	s_and_saveexec_b32 s2, s26
	s_cbranch_execnz .LBB15_241
.LBB15_138:
	s_or_b32 exec_lo, exec_lo, s2
                                        ; implicit-def: $vgpr26
	s_and_saveexec_b32 s2, s27
	s_cbranch_execnz .LBB15_242
.LBB15_139:
	s_or_b32 exec_lo, exec_lo, s2
                                        ; implicit-def: $vgpr24
	s_and_saveexec_b32 s2, s28
	s_cbranch_execnz .LBB15_243
.LBB15_140:
	s_or_b32 exec_lo, exec_lo, s2
                                        ; implicit-def: $vgpr23
	s_and_saveexec_b32 s2, s29
	s_cbranch_execnz .LBB15_244
.LBB15_141:
	s_or_b32 exec_lo, exec_lo, s2
                                        ; implicit-def: $vgpr21
	s_and_saveexec_b32 s2, s30
	s_cbranch_execnz .LBB15_245
.LBB15_142:
	s_or_b32 exec_lo, exec_lo, s2
                                        ; implicit-def: $vgpr20
	s_and_saveexec_b32 s2, s31
	s_cbranch_execnz .LBB15_246
.LBB15_143:
	s_or_b32 exec_lo, exec_lo, s2
                                        ; implicit-def: $vgpr6
	s_and_saveexec_b32 s2, s33
	s_cbranch_execnz .LBB15_247
.LBB15_144:
	s_or_b32 exec_lo, exec_lo, s2
                                        ; implicit-def: $vgpr5
	s_and_saveexec_b32 s2, s34
	s_cbranch_execz .LBB15_146
.LBB15_145:
	v_lshlrev_b32_e32 v5, 3, v1
	ds_load_b64 v[56:57], v5 offset:32768
	s_waitcnt lgkmcnt(0)
	v_lshrrev_b64 v[56:57], s48, v[56:57]
	s_delay_alu instid0(VALU_DEP_1)
	v_and_b32_e32 v5, s55, v56
.LBB15_146:
	s_or_b32 exec_lo, exec_lo, s2
	s_waitcnt vmcnt(0)
	s_waitcnt_vscnt null, 0x0
	s_barrier
	buffer_gl0_inv
	ds_store_b8 v36, v7 offset:2048
	ds_store_b8 v37, v9 offset:2048
	;; [unrolled: 1-line block ×16, first 2 shown]
	s_waitcnt lgkmcnt(0)
	s_barrier
	buffer_gl0_inv
	s_and_saveexec_b32 s2, s18
	s_cbranch_execnz .LBB15_248
; %bb.147:
	s_or_b32 exec_lo, exec_lo, s2
	s_and_saveexec_b32 s2, s19
	s_cbranch_execnz .LBB15_249
.LBB15_148:
	s_or_b32 exec_lo, exec_lo, s2
	s_and_saveexec_b32 s2, s20
	s_cbranch_execnz .LBB15_250
.LBB15_149:
	s_or_b32 exec_lo, exec_lo, s2
	s_and_saveexec_b32 s2, s21
	s_cbranch_execnz .LBB15_251
.LBB15_150:
	s_or_b32 exec_lo, exec_lo, s2
	s_and_saveexec_b32 s2, s22
	s_cbranch_execnz .LBB15_252
.LBB15_151:
	s_or_b32 exec_lo, exec_lo, s2
	s_and_saveexec_b32 s2, s23
	s_cbranch_execnz .LBB15_253
.LBB15_152:
	s_or_b32 exec_lo, exec_lo, s2
	s_and_saveexec_b32 s2, s24
	s_cbranch_execnz .LBB15_254
.LBB15_153:
	s_or_b32 exec_lo, exec_lo, s2
	s_and_saveexec_b32 s2, s25
	s_cbranch_execnz .LBB15_255
.LBB15_154:
	s_or_b32 exec_lo, exec_lo, s2
	s_and_saveexec_b32 s2, s26
	s_cbranch_execnz .LBB15_256
.LBB15_155:
	s_or_b32 exec_lo, exec_lo, s2
	s_and_saveexec_b32 s2, s27
	s_cbranch_execnz .LBB15_257
.LBB15_156:
	s_or_b32 exec_lo, exec_lo, s2
	s_and_saveexec_b32 s2, s28
	s_cbranch_execnz .LBB15_258
.LBB15_157:
	s_or_b32 exec_lo, exec_lo, s2
	s_and_saveexec_b32 s2, s29
	s_cbranch_execnz .LBB15_259
.LBB15_158:
	s_or_b32 exec_lo, exec_lo, s2
	s_and_saveexec_b32 s2, s30
	s_cbranch_execnz .LBB15_260
.LBB15_159:
	s_or_b32 exec_lo, exec_lo, s2
	s_and_saveexec_b32 s2, s31
	s_cbranch_execnz .LBB15_261
.LBB15_160:
	s_or_b32 exec_lo, exec_lo, s2
	s_and_saveexec_b32 s2, s33
	s_cbranch_execnz .LBB15_262
.LBB15_161:
	s_or_b32 exec_lo, exec_lo, s2
	s_and_saveexec_b32 s2, s34
	s_cbranch_execz .LBB15_163
.LBB15_162:
	v_lshlrev_b32_e32 v5, 3, v5
	ds_load_b64 v[5:6], v5
	ds_load_u8 v7, v1 offset:5888
	s_waitcnt lgkmcnt(1)
	v_add_co_u32 v5, vcc_lo, s42, v5
	v_add_co_ci_u32_e32 v6, vcc_lo, s43, v6, vcc_lo
	s_delay_alu instid0(VALU_DEP_2) | instskip(NEXT) | instid1(VALU_DEP_2)
	v_add_co_u32 v5, vcc_lo, v5, v1
	v_add_co_ci_u32_e32 v6, vcc_lo, 0, v6, vcc_lo
	s_waitcnt lgkmcnt(0)
	global_store_b8 v[5:6], v7, off offset:3840
.LBB15_163:
	s_or_b32 exec_lo, exec_lo, s2
	s_add_i32 s51, s51, -1
	s_delay_alu instid0(SALU_CYCLE_1)
	s_cmp_eq_u32 s15, s51
	s_cselect_b32 s2, -1, 0
	s_branch .LBB15_214
.LBB15_164:
	s_mov_b32 s2, 0
                                        ; implicit-def: $vgpr8
                                        ; implicit-def: $vgpr3_vgpr4
                                        ; implicit-def: $vgpr10
	s_cbranch_execz .LBB15_214
; %bb.165:
	v_dual_mov_b32 v37, 0 :: v_dual_lshlrev_b32 v2, 4, v1
	s_lshl_b32 s2, s15, 12
	s_mov_b32 s3, 0
	s_delay_alu instid0(SALU_CYCLE_1) | instskip(NEXT) | instid1(VALU_DEP_1)
	s_lshl_b64 s[4:5], s[2:3], 3
	v_and_b32_e32 v43, 0xe00, v2
	v_lshlrev_b32_e32 v2, 3, v42
	s_add_u32 s3, s36, s4
	s_addc_u32 s4, s37, s5
	s_delay_alu instid0(VALU_DEP_2) | instskip(NEXT) | instid1(VALU_DEP_2)
	v_lshlrev_b32_e32 v3, 3, v43
	v_add_co_u32 v2, s3, s3, v2
	s_delay_alu instid0(VALU_DEP_1) | instskip(NEXT) | instid1(VALU_DEP_2)
	v_add_co_ci_u32_e64 v4, null, s4, 0, s3
	v_add_co_u32 v2, vcc_lo, v2, v3
	s_delay_alu instid0(VALU_DEP_2)
	v_add_co_ci_u32_e32 v3, vcc_lo, 0, v4, vcc_lo
	global_load_b64 v[4:5], v[2:3], off
	s_clause 0x1
	s_load_b32 s4, s[0:1], 0x5c
	s_load_b32 s3, s[0:1], 0x50
	s_add_u32 s0, s0, 0x50
	s_addc_u32 s1, s1, 0
	s_waitcnt lgkmcnt(0)
	s_lshr_b32 s4, s4, 16
	s_cmp_lt_u32 s15, s3
	s_cselect_b32 s5, 12, 18
	s_delay_alu instid0(SALU_CYCLE_1)
	s_add_u32 s0, s0, s5
	s_addc_u32 s1, s1, 0
	global_load_u16 v38, v37, s[0:1]
	s_clause 0xe
	global_load_b64 v[6:7], v[2:3], off offset:256
	global_load_b64 v[8:9], v[2:3], off offset:512
	;; [unrolled: 1-line block ×15, first 2 shown]
	s_lshl_b32 s0, -1, s49
	s_delay_alu instid0(SALU_CYCLE_1) | instskip(SKIP_3) | instid1(VALU_DEP_1)
	s_not_b32 s1, s0
	s_waitcnt vmcnt(16)
	v_xor_b32_e32 v5, 0x7fffffff, v5
	v_not_b32_e32 v4, v4
	v_lshrrev_b64 v[34:35], s48, v[4:5]
	s_delay_alu instid0(VALU_DEP_1) | instskip(SKIP_2) | instid1(VALU_DEP_3)
	v_and_b32_e32 v39, s1, v34
	v_bfe_u32 v34, v0, 10, 10
	v_bfe_u32 v0, v0, 20, 10
	v_and_b32_e32 v35, 1, v39
	v_lshlrev_b32_e32 v36, 30, v39
	v_lshlrev_b32_e32 v40, 29, v39
	;; [unrolled: 1-line block ×4, first 2 shown]
	v_add_co_u32 v35, s0, v35, -1
	s_delay_alu instid0(VALU_DEP_1)
	v_cndmask_b32_e64 v44, 0, 1, s0
	v_not_b32_e32 v48, v36
	v_cmp_gt_i32_e64 s0, 0, v36
	v_not_b32_e32 v36, v40
	v_lshlrev_b32_e32 v46, 26, v39
	v_cmp_ne_u32_e32 vcc_lo, 0, v44
	v_ashrrev_i32_e32 v48, 31, v48
	v_lshlrev_b32_e32 v47, 25, v39
	v_ashrrev_i32_e32 v36, 31, v36
	v_lshlrev_b32_e32 v44, 24, v39
	v_xor_b32_e32 v35, vcc_lo, v35
	v_cmp_gt_i32_e32 vcc_lo, 0, v40
	v_not_b32_e32 v40, v41
	v_xor_b32_e32 v48, s0, v48
	v_cmp_gt_i32_e64 s0, 0, v41
	v_and_b32_e32 v35, exec_lo, v35
	v_not_b32_e32 v41, v45
	v_ashrrev_i32_e32 v40, 31, v40
	v_xor_b32_e32 v36, vcc_lo, v36
	v_cmp_gt_i32_e32 vcc_lo, 0, v45
	v_and_b32_e32 v35, v35, v48
	v_not_b32_e32 v45, v46
	v_ashrrev_i32_e32 v41, 31, v41
	v_xor_b32_e32 v40, s0, v40
	v_cmp_gt_i32_e64 s0, 0, v46
	v_and_b32_e32 v35, v35, v36
	v_not_b32_e32 v36, v47
	v_ashrrev_i32_e32 v45, 31, v45
	v_xor_b32_e32 v41, vcc_lo, v41
	v_cmp_gt_i32_e32 vcc_lo, 0, v47
	v_and_b32_e32 v35, v35, v40
	v_not_b32_e32 v40, v44
	v_ashrrev_i32_e32 v36, 31, v36
	v_xor_b32_e32 v45, s0, v45
	v_cmp_gt_i32_e64 s0, 0, v44
	v_and_b32_e32 v35, v35, v41
	v_ashrrev_i32_e32 v40, 31, v40
	v_xor_b32_e32 v36, vcc_lo, v36
	v_mad_u32_u24 v0, v0, s4, v34
	v_mul_u32_u24_e32 v41, 9, v1
	v_and_b32_e32 v35, v35, v45
	v_xor_b32_e32 v34, s0, v40
	s_delay_alu instid0(VALU_DEP_3) | instskip(NEXT) | instid1(VALU_DEP_3)
	v_lshlrev_b32_e32 v44, 2, v41
	v_and_b32_e32 v40, v35, v36
	s_waitcnt vmcnt(0)
	v_mad_u64_u32 v[35:36], null, v0, v38, v[1:2]
	ds_store_2addr_b32 v44, v37, v37 offset0:8 offset1:9
	ds_store_2addr_b32 v44, v37, v37 offset0:10 offset1:11
	;; [unrolled: 1-line block ×4, first 2 shown]
	v_and_b32_e32 v34, v40, v34
	ds_store_b32 v44, v37 offset:64
	s_waitcnt lgkmcnt(0)
	s_waitcnt_vscnt null, 0x0
	s_barrier
	v_lshrrev_b32_e32 v36, 5, v35
	v_mbcnt_lo_u32_b32 v0, v34, 0
	v_lshl_add_u32 v35, v39, 3, v39
	v_cmp_ne_u32_e64 s0, 0, v34
	buffer_gl0_inv
	v_cmp_eq_u32_e32 vcc_lo, 0, v0
	v_add_lshl_u32 v45, v36, v35, 2
	; wave barrier
	s_and_b32 s4, s0, vcc_lo
	s_delay_alu instid0(SALU_CYCLE_1)
	s_and_saveexec_b32 s0, s4
	s_cbranch_execz .LBB15_167
; %bb.166:
	v_bcnt_u32_b32 v34, v34, 0
	ds_store_b32 v45, v34 offset:32
.LBB15_167:
	s_or_b32 exec_lo, exec_lo, s0
	v_xor_b32_e32 v7, 0x7fffffff, v7
	v_not_b32_e32 v6, v6
	; wave barrier
	s_delay_alu instid0(VALU_DEP_1) | instskip(NEXT) | instid1(VALU_DEP_1)
	v_lshrrev_b64 v[34:35], s48, v[6:7]
	v_and_b32_e32 v34, s1, v34
	s_delay_alu instid0(VALU_DEP_1)
	v_and_b32_e32 v35, 1, v34
	v_lshlrev_b32_e32 v37, 30, v34
	v_lshlrev_b32_e32 v38, 29, v34
	;; [unrolled: 1-line block ×4, first 2 shown]
	v_add_co_u32 v35, s0, v35, -1
	s_delay_alu instid0(VALU_DEP_1)
	v_cndmask_b32_e64 v40, 0, 1, s0
	v_not_b32_e32 v48, v37
	v_cmp_gt_i32_e64 s0, 0, v37
	v_not_b32_e32 v37, v38
	v_lshlrev_b32_e32 v46, 26, v34
	v_cmp_ne_u32_e32 vcc_lo, 0, v40
	v_ashrrev_i32_e32 v48, 31, v48
	v_lshlrev_b32_e32 v47, 25, v34
	v_ashrrev_i32_e32 v37, 31, v37
	v_lshlrev_b32_e32 v40, 24, v34
	v_xor_b32_e32 v35, vcc_lo, v35
	v_cmp_gt_i32_e32 vcc_lo, 0, v38
	v_not_b32_e32 v38, v39
	v_xor_b32_e32 v48, s0, v48
	v_cmp_gt_i32_e64 s0, 0, v39
	v_and_b32_e32 v35, exec_lo, v35
	v_not_b32_e32 v39, v41
	v_ashrrev_i32_e32 v38, 31, v38
	v_xor_b32_e32 v37, vcc_lo, v37
	v_cmp_gt_i32_e32 vcc_lo, 0, v41
	v_and_b32_e32 v35, v35, v48
	v_not_b32_e32 v41, v46
	v_ashrrev_i32_e32 v39, 31, v39
	v_xor_b32_e32 v38, s0, v38
	v_cmp_gt_i32_e64 s0, 0, v46
	v_and_b32_e32 v35, v35, v37
	v_not_b32_e32 v37, v47
	v_ashrrev_i32_e32 v41, 31, v41
	v_xor_b32_e32 v39, vcc_lo, v39
	v_cmp_gt_i32_e32 vcc_lo, 0, v47
	v_and_b32_e32 v35, v35, v38
	v_not_b32_e32 v38, v40
	v_ashrrev_i32_e32 v37, 31, v37
	v_xor_b32_e32 v41, s0, v41
	v_lshl_add_u32 v34, v34, 3, v34
	v_and_b32_e32 v35, v35, v39
	v_cmp_gt_i32_e64 s0, 0, v40
	v_ashrrev_i32_e32 v38, 31, v38
	v_xor_b32_e32 v37, vcc_lo, v37
	v_add_lshl_u32 v48, v36, v34, 2
	v_and_b32_e32 v35, v35, v41
	s_delay_alu instid0(VALU_DEP_4) | instskip(SKIP_2) | instid1(VALU_DEP_1)
	v_xor_b32_e32 v34, s0, v38
	ds_load_b32 v46, v48 offset:32
	v_and_b32_e32 v35, v35, v37
	; wave barrier
	v_and_b32_e32 v34, v35, v34
	s_delay_alu instid0(VALU_DEP_1) | instskip(SKIP_1) | instid1(VALU_DEP_2)
	v_mbcnt_lo_u32_b32 v47, v34, 0
	v_cmp_ne_u32_e64 s0, 0, v34
	v_cmp_eq_u32_e32 vcc_lo, 0, v47
	s_delay_alu instid0(VALU_DEP_2) | instskip(NEXT) | instid1(SALU_CYCLE_1)
	s_and_b32 s4, s0, vcc_lo
	s_and_saveexec_b32 s0, s4
	s_cbranch_execz .LBB15_169
; %bb.168:
	s_waitcnt lgkmcnt(0)
	v_bcnt_u32_b32 v34, v34, v46
	ds_store_b32 v48, v34 offset:32
.LBB15_169:
	s_or_b32 exec_lo, exec_lo, s0
	v_xor_b32_e32 v9, 0x7fffffff, v9
	v_not_b32_e32 v8, v8
	; wave barrier
	s_delay_alu instid0(VALU_DEP_1) | instskip(NEXT) | instid1(VALU_DEP_1)
	v_lshrrev_b64 v[34:35], s48, v[8:9]
	v_and_b32_e32 v34, s1, v34
	s_delay_alu instid0(VALU_DEP_1)
	v_and_b32_e32 v35, 1, v34
	v_lshlrev_b32_e32 v37, 30, v34
	v_lshlrev_b32_e32 v38, 29, v34
	;; [unrolled: 1-line block ×4, first 2 shown]
	v_add_co_u32 v35, s0, v35, -1
	s_delay_alu instid0(VALU_DEP_1)
	v_cndmask_b32_e64 v40, 0, 1, s0
	v_not_b32_e32 v51, v37
	v_cmp_gt_i32_e64 s0, 0, v37
	v_not_b32_e32 v37, v38
	v_lshlrev_b32_e32 v49, 26, v34
	v_cmp_ne_u32_e32 vcc_lo, 0, v40
	v_ashrrev_i32_e32 v51, 31, v51
	v_lshlrev_b32_e32 v50, 25, v34
	v_ashrrev_i32_e32 v37, 31, v37
	v_lshlrev_b32_e32 v40, 24, v34
	v_xor_b32_e32 v35, vcc_lo, v35
	v_cmp_gt_i32_e32 vcc_lo, 0, v38
	v_not_b32_e32 v38, v39
	v_xor_b32_e32 v51, s0, v51
	v_cmp_gt_i32_e64 s0, 0, v39
	v_and_b32_e32 v35, exec_lo, v35
	v_not_b32_e32 v39, v41
	v_ashrrev_i32_e32 v38, 31, v38
	v_xor_b32_e32 v37, vcc_lo, v37
	v_cmp_gt_i32_e32 vcc_lo, 0, v41
	v_and_b32_e32 v35, v35, v51
	v_not_b32_e32 v41, v49
	v_ashrrev_i32_e32 v39, 31, v39
	v_xor_b32_e32 v38, s0, v38
	v_cmp_gt_i32_e64 s0, 0, v49
	v_and_b32_e32 v35, v35, v37
	v_not_b32_e32 v37, v50
	v_ashrrev_i32_e32 v41, 31, v41
	v_xor_b32_e32 v39, vcc_lo, v39
	v_cmp_gt_i32_e32 vcc_lo, 0, v50
	v_and_b32_e32 v35, v35, v38
	v_not_b32_e32 v38, v40
	v_ashrrev_i32_e32 v37, 31, v37
	v_xor_b32_e32 v41, s0, v41
	v_lshl_add_u32 v34, v34, 3, v34
	v_and_b32_e32 v35, v35, v39
	v_cmp_gt_i32_e64 s0, 0, v40
	v_ashrrev_i32_e32 v38, 31, v38
	v_xor_b32_e32 v37, vcc_lo, v37
	v_add_lshl_u32 v51, v36, v34, 2
	v_and_b32_e32 v35, v35, v41
	s_delay_alu instid0(VALU_DEP_4) | instskip(SKIP_2) | instid1(VALU_DEP_1)
	v_xor_b32_e32 v34, s0, v38
	ds_load_b32 v49, v51 offset:32
	v_and_b32_e32 v35, v35, v37
	; wave barrier
	v_and_b32_e32 v34, v35, v34
	s_delay_alu instid0(VALU_DEP_1) | instskip(SKIP_1) | instid1(VALU_DEP_2)
	v_mbcnt_lo_u32_b32 v50, v34, 0
	v_cmp_ne_u32_e64 s0, 0, v34
	v_cmp_eq_u32_e32 vcc_lo, 0, v50
	s_delay_alu instid0(VALU_DEP_2) | instskip(NEXT) | instid1(SALU_CYCLE_1)
	s_and_b32 s4, s0, vcc_lo
	s_and_saveexec_b32 s0, s4
	s_cbranch_execz .LBB15_171
; %bb.170:
	s_waitcnt lgkmcnt(0)
	v_bcnt_u32_b32 v34, v34, v49
	ds_store_b32 v51, v34 offset:32
.LBB15_171:
	s_or_b32 exec_lo, exec_lo, s0
	v_xor_b32_e32 v11, 0x7fffffff, v11
	v_not_b32_e32 v10, v10
	; wave barrier
	s_delay_alu instid0(VALU_DEP_1) | instskip(NEXT) | instid1(VALU_DEP_1)
	v_lshrrev_b64 v[34:35], s48, v[10:11]
	v_and_b32_e32 v34, s1, v34
	s_delay_alu instid0(VALU_DEP_1)
	v_and_b32_e32 v35, 1, v34
	v_lshlrev_b32_e32 v37, 30, v34
	v_lshlrev_b32_e32 v38, 29, v34
	;; [unrolled: 1-line block ×4, first 2 shown]
	v_add_co_u32 v35, s0, v35, -1
	s_delay_alu instid0(VALU_DEP_1)
	v_cndmask_b32_e64 v40, 0, 1, s0
	v_not_b32_e32 v54, v37
	v_cmp_gt_i32_e64 s0, 0, v37
	v_not_b32_e32 v37, v38
	v_lshlrev_b32_e32 v52, 26, v34
	v_cmp_ne_u32_e32 vcc_lo, 0, v40
	v_ashrrev_i32_e32 v54, 31, v54
	v_lshlrev_b32_e32 v53, 25, v34
	v_ashrrev_i32_e32 v37, 31, v37
	v_lshlrev_b32_e32 v40, 24, v34
	v_xor_b32_e32 v35, vcc_lo, v35
	v_cmp_gt_i32_e32 vcc_lo, 0, v38
	v_not_b32_e32 v38, v39
	v_xor_b32_e32 v54, s0, v54
	v_cmp_gt_i32_e64 s0, 0, v39
	v_and_b32_e32 v35, exec_lo, v35
	v_not_b32_e32 v39, v41
	v_ashrrev_i32_e32 v38, 31, v38
	v_xor_b32_e32 v37, vcc_lo, v37
	v_cmp_gt_i32_e32 vcc_lo, 0, v41
	v_and_b32_e32 v35, v35, v54
	v_not_b32_e32 v41, v52
	v_ashrrev_i32_e32 v39, 31, v39
	v_xor_b32_e32 v38, s0, v38
	v_cmp_gt_i32_e64 s0, 0, v52
	v_and_b32_e32 v35, v35, v37
	v_not_b32_e32 v37, v53
	v_ashrrev_i32_e32 v41, 31, v41
	v_xor_b32_e32 v39, vcc_lo, v39
	v_cmp_gt_i32_e32 vcc_lo, 0, v53
	v_and_b32_e32 v35, v35, v38
	v_not_b32_e32 v38, v40
	v_ashrrev_i32_e32 v37, 31, v37
	v_xor_b32_e32 v41, s0, v41
	v_lshl_add_u32 v34, v34, 3, v34
	v_and_b32_e32 v35, v35, v39
	v_cmp_gt_i32_e64 s0, 0, v40
	v_ashrrev_i32_e32 v38, 31, v38
	v_xor_b32_e32 v37, vcc_lo, v37
	v_add_lshl_u32 v54, v36, v34, 2
	v_and_b32_e32 v35, v35, v41
	s_delay_alu instid0(VALU_DEP_4) | instskip(SKIP_2) | instid1(VALU_DEP_1)
	v_xor_b32_e32 v34, s0, v38
	ds_load_b32 v52, v54 offset:32
	v_and_b32_e32 v35, v35, v37
	; wave barrier
	v_and_b32_e32 v34, v35, v34
	s_delay_alu instid0(VALU_DEP_1) | instskip(SKIP_1) | instid1(VALU_DEP_2)
	v_mbcnt_lo_u32_b32 v53, v34, 0
	v_cmp_ne_u32_e64 s0, 0, v34
	v_cmp_eq_u32_e32 vcc_lo, 0, v53
	s_delay_alu instid0(VALU_DEP_2) | instskip(NEXT) | instid1(SALU_CYCLE_1)
	s_and_b32 s4, s0, vcc_lo
	s_and_saveexec_b32 s0, s4
	s_cbranch_execz .LBB15_173
; %bb.172:
	s_waitcnt lgkmcnt(0)
	v_bcnt_u32_b32 v34, v34, v52
	ds_store_b32 v54, v34 offset:32
.LBB15_173:
	s_or_b32 exec_lo, exec_lo, s0
	v_xor_b32_e32 v15, 0x7fffffff, v15
	v_not_b32_e32 v14, v14
	; wave barrier
	s_delay_alu instid0(VALU_DEP_1) | instskip(NEXT) | instid1(VALU_DEP_1)
	v_lshrrev_b64 v[34:35], s48, v[14:15]
	v_and_b32_e32 v34, s1, v34
	s_delay_alu instid0(VALU_DEP_1)
	v_and_b32_e32 v35, 1, v34
	v_lshlrev_b32_e32 v37, 30, v34
	v_lshlrev_b32_e32 v38, 29, v34
	;; [unrolled: 1-line block ×4, first 2 shown]
	v_add_co_u32 v35, s0, v35, -1
	s_delay_alu instid0(VALU_DEP_1)
	v_cndmask_b32_e64 v40, 0, 1, s0
	v_not_b32_e32 v57, v37
	v_cmp_gt_i32_e64 s0, 0, v37
	v_not_b32_e32 v37, v38
	v_lshlrev_b32_e32 v55, 26, v34
	v_cmp_ne_u32_e32 vcc_lo, 0, v40
	v_ashrrev_i32_e32 v57, 31, v57
	v_lshlrev_b32_e32 v56, 25, v34
	v_ashrrev_i32_e32 v37, 31, v37
	v_lshlrev_b32_e32 v40, 24, v34
	v_xor_b32_e32 v35, vcc_lo, v35
	v_cmp_gt_i32_e32 vcc_lo, 0, v38
	v_not_b32_e32 v38, v39
	v_xor_b32_e32 v57, s0, v57
	v_cmp_gt_i32_e64 s0, 0, v39
	v_and_b32_e32 v35, exec_lo, v35
	v_not_b32_e32 v39, v41
	v_ashrrev_i32_e32 v38, 31, v38
	v_xor_b32_e32 v37, vcc_lo, v37
	v_cmp_gt_i32_e32 vcc_lo, 0, v41
	v_and_b32_e32 v35, v35, v57
	v_not_b32_e32 v41, v55
	v_ashrrev_i32_e32 v39, 31, v39
	v_xor_b32_e32 v38, s0, v38
	v_cmp_gt_i32_e64 s0, 0, v55
	v_and_b32_e32 v35, v35, v37
	v_not_b32_e32 v37, v56
	v_ashrrev_i32_e32 v41, 31, v41
	v_xor_b32_e32 v39, vcc_lo, v39
	v_cmp_gt_i32_e32 vcc_lo, 0, v56
	v_and_b32_e32 v35, v35, v38
	v_not_b32_e32 v38, v40
	v_ashrrev_i32_e32 v37, 31, v37
	v_xor_b32_e32 v41, s0, v41
	v_lshl_add_u32 v34, v34, 3, v34
	v_and_b32_e32 v35, v35, v39
	v_cmp_gt_i32_e64 s0, 0, v40
	v_ashrrev_i32_e32 v38, 31, v38
	v_xor_b32_e32 v37, vcc_lo, v37
	v_add_lshl_u32 v57, v36, v34, 2
	v_and_b32_e32 v35, v35, v41
	s_delay_alu instid0(VALU_DEP_4) | instskip(SKIP_2) | instid1(VALU_DEP_1)
	v_xor_b32_e32 v34, s0, v38
	ds_load_b32 v55, v57 offset:32
	v_and_b32_e32 v35, v35, v37
	; wave barrier
	v_and_b32_e32 v34, v35, v34
	s_delay_alu instid0(VALU_DEP_1) | instskip(SKIP_1) | instid1(VALU_DEP_2)
	v_mbcnt_lo_u32_b32 v56, v34, 0
	v_cmp_ne_u32_e64 s0, 0, v34
	v_cmp_eq_u32_e32 vcc_lo, 0, v56
	s_delay_alu instid0(VALU_DEP_2) | instskip(NEXT) | instid1(SALU_CYCLE_1)
	s_and_b32 s4, s0, vcc_lo
	s_and_saveexec_b32 s0, s4
	s_cbranch_execz .LBB15_175
; %bb.174:
	s_waitcnt lgkmcnt(0)
	v_bcnt_u32_b32 v34, v34, v55
	ds_store_b32 v57, v34 offset:32
.LBB15_175:
	s_or_b32 exec_lo, exec_lo, s0
	v_xor_b32_e32 v19, 0x7fffffff, v19
	v_not_b32_e32 v18, v18
	; wave barrier
	s_delay_alu instid0(VALU_DEP_1) | instskip(NEXT) | instid1(VALU_DEP_1)
	v_lshrrev_b64 v[34:35], s48, v[18:19]
	v_and_b32_e32 v34, s1, v34
	s_delay_alu instid0(VALU_DEP_1)
	v_and_b32_e32 v35, 1, v34
	v_lshlrev_b32_e32 v37, 30, v34
	v_lshlrev_b32_e32 v38, 29, v34
	;; [unrolled: 1-line block ×4, first 2 shown]
	v_add_co_u32 v35, s0, v35, -1
	s_delay_alu instid0(VALU_DEP_1)
	v_cndmask_b32_e64 v40, 0, 1, s0
	v_not_b32_e32 v60, v37
	v_cmp_gt_i32_e64 s0, 0, v37
	v_not_b32_e32 v37, v38
	v_lshlrev_b32_e32 v58, 26, v34
	v_cmp_ne_u32_e32 vcc_lo, 0, v40
	v_ashrrev_i32_e32 v60, 31, v60
	v_lshlrev_b32_e32 v59, 25, v34
	v_ashrrev_i32_e32 v37, 31, v37
	v_lshlrev_b32_e32 v40, 24, v34
	v_xor_b32_e32 v35, vcc_lo, v35
	v_cmp_gt_i32_e32 vcc_lo, 0, v38
	v_not_b32_e32 v38, v39
	v_xor_b32_e32 v60, s0, v60
	v_cmp_gt_i32_e64 s0, 0, v39
	v_and_b32_e32 v35, exec_lo, v35
	v_not_b32_e32 v39, v41
	v_ashrrev_i32_e32 v38, 31, v38
	v_xor_b32_e32 v37, vcc_lo, v37
	v_cmp_gt_i32_e32 vcc_lo, 0, v41
	v_and_b32_e32 v35, v35, v60
	v_not_b32_e32 v41, v58
	v_ashrrev_i32_e32 v39, 31, v39
	v_xor_b32_e32 v38, s0, v38
	v_cmp_gt_i32_e64 s0, 0, v58
	v_and_b32_e32 v35, v35, v37
	v_not_b32_e32 v37, v59
	v_ashrrev_i32_e32 v41, 31, v41
	v_xor_b32_e32 v39, vcc_lo, v39
	v_cmp_gt_i32_e32 vcc_lo, 0, v59
	v_and_b32_e32 v35, v35, v38
	v_not_b32_e32 v38, v40
	v_ashrrev_i32_e32 v37, 31, v37
	v_xor_b32_e32 v41, s0, v41
	v_lshl_add_u32 v34, v34, 3, v34
	v_and_b32_e32 v35, v35, v39
	v_cmp_gt_i32_e64 s0, 0, v40
	v_ashrrev_i32_e32 v38, 31, v38
	v_xor_b32_e32 v37, vcc_lo, v37
	v_add_lshl_u32 v60, v36, v34, 2
	v_and_b32_e32 v35, v35, v41
	s_delay_alu instid0(VALU_DEP_4) | instskip(SKIP_2) | instid1(VALU_DEP_1)
	v_xor_b32_e32 v34, s0, v38
	ds_load_b32 v58, v60 offset:32
	v_and_b32_e32 v35, v35, v37
	; wave barrier
	v_and_b32_e32 v34, v35, v34
	s_delay_alu instid0(VALU_DEP_1) | instskip(SKIP_1) | instid1(VALU_DEP_2)
	v_mbcnt_lo_u32_b32 v59, v34, 0
	v_cmp_ne_u32_e64 s0, 0, v34
	v_cmp_eq_u32_e32 vcc_lo, 0, v59
	s_delay_alu instid0(VALU_DEP_2) | instskip(NEXT) | instid1(SALU_CYCLE_1)
	s_and_b32 s4, s0, vcc_lo
	s_and_saveexec_b32 s0, s4
	s_cbranch_execz .LBB15_177
; %bb.176:
	s_waitcnt lgkmcnt(0)
	v_bcnt_u32_b32 v34, v34, v58
	ds_store_b32 v60, v34 offset:32
.LBB15_177:
	s_or_b32 exec_lo, exec_lo, s0
	v_xor_b32_e32 v23, 0x7fffffff, v23
	v_not_b32_e32 v22, v22
	; wave barrier
	s_delay_alu instid0(VALU_DEP_1) | instskip(NEXT) | instid1(VALU_DEP_1)
	v_lshrrev_b64 v[34:35], s48, v[22:23]
	v_and_b32_e32 v34, s1, v34
	s_delay_alu instid0(VALU_DEP_1)
	v_and_b32_e32 v35, 1, v34
	v_lshlrev_b32_e32 v37, 30, v34
	v_lshlrev_b32_e32 v38, 29, v34
	;; [unrolled: 1-line block ×4, first 2 shown]
	v_add_co_u32 v35, s0, v35, -1
	s_delay_alu instid0(VALU_DEP_1)
	v_cndmask_b32_e64 v40, 0, 1, s0
	v_not_b32_e32 v63, v37
	v_cmp_gt_i32_e64 s0, 0, v37
	v_not_b32_e32 v37, v38
	v_lshlrev_b32_e32 v61, 26, v34
	v_cmp_ne_u32_e32 vcc_lo, 0, v40
	v_ashrrev_i32_e32 v63, 31, v63
	v_lshlrev_b32_e32 v62, 25, v34
	v_ashrrev_i32_e32 v37, 31, v37
	v_lshlrev_b32_e32 v40, 24, v34
	v_xor_b32_e32 v35, vcc_lo, v35
	v_cmp_gt_i32_e32 vcc_lo, 0, v38
	v_not_b32_e32 v38, v39
	v_xor_b32_e32 v63, s0, v63
	v_cmp_gt_i32_e64 s0, 0, v39
	v_and_b32_e32 v35, exec_lo, v35
	v_not_b32_e32 v39, v41
	v_ashrrev_i32_e32 v38, 31, v38
	v_xor_b32_e32 v37, vcc_lo, v37
	v_cmp_gt_i32_e32 vcc_lo, 0, v41
	v_and_b32_e32 v35, v35, v63
	v_not_b32_e32 v41, v61
	v_ashrrev_i32_e32 v39, 31, v39
	v_xor_b32_e32 v38, s0, v38
	v_cmp_gt_i32_e64 s0, 0, v61
	v_and_b32_e32 v35, v35, v37
	v_not_b32_e32 v37, v62
	v_ashrrev_i32_e32 v41, 31, v41
	v_xor_b32_e32 v39, vcc_lo, v39
	v_cmp_gt_i32_e32 vcc_lo, 0, v62
	v_and_b32_e32 v35, v35, v38
	v_not_b32_e32 v38, v40
	v_ashrrev_i32_e32 v37, 31, v37
	v_xor_b32_e32 v41, s0, v41
	v_lshl_add_u32 v34, v34, 3, v34
	v_and_b32_e32 v35, v35, v39
	v_cmp_gt_i32_e64 s0, 0, v40
	v_ashrrev_i32_e32 v38, 31, v38
	v_xor_b32_e32 v37, vcc_lo, v37
	v_add_lshl_u32 v63, v36, v34, 2
	v_and_b32_e32 v35, v35, v41
	s_delay_alu instid0(VALU_DEP_4) | instskip(SKIP_2) | instid1(VALU_DEP_1)
	v_xor_b32_e32 v34, s0, v38
	ds_load_b32 v61, v63 offset:32
	v_and_b32_e32 v35, v35, v37
	; wave barrier
	v_and_b32_e32 v34, v35, v34
	s_delay_alu instid0(VALU_DEP_1) | instskip(SKIP_1) | instid1(VALU_DEP_2)
	v_mbcnt_lo_u32_b32 v62, v34, 0
	v_cmp_ne_u32_e64 s0, 0, v34
	v_cmp_eq_u32_e32 vcc_lo, 0, v62
	s_delay_alu instid0(VALU_DEP_2) | instskip(NEXT) | instid1(SALU_CYCLE_1)
	s_and_b32 s4, s0, vcc_lo
	s_and_saveexec_b32 s0, s4
	s_cbranch_execz .LBB15_179
; %bb.178:
	s_waitcnt lgkmcnt(0)
	v_bcnt_u32_b32 v34, v34, v61
	ds_store_b32 v63, v34 offset:32
.LBB15_179:
	s_or_b32 exec_lo, exec_lo, s0
	v_xor_b32_e32 v27, 0x7fffffff, v27
	v_not_b32_e32 v26, v26
	; wave barrier
	s_delay_alu instid0(VALU_DEP_1) | instskip(NEXT) | instid1(VALU_DEP_1)
	v_lshrrev_b64 v[34:35], s48, v[26:27]
	v_and_b32_e32 v34, s1, v34
	s_delay_alu instid0(VALU_DEP_1)
	v_and_b32_e32 v35, 1, v34
	v_lshlrev_b32_e32 v37, 30, v34
	v_lshlrev_b32_e32 v38, 29, v34
	v_lshlrev_b32_e32 v39, 28, v34
	v_lshlrev_b32_e32 v41, 27, v34
	v_add_co_u32 v35, s0, v35, -1
	s_delay_alu instid0(VALU_DEP_1)
	v_cndmask_b32_e64 v40, 0, 1, s0
	v_not_b32_e32 v66, v37
	v_cmp_gt_i32_e64 s0, 0, v37
	v_not_b32_e32 v37, v38
	v_lshlrev_b32_e32 v64, 26, v34
	v_cmp_ne_u32_e32 vcc_lo, 0, v40
	v_ashrrev_i32_e32 v66, 31, v66
	v_lshlrev_b32_e32 v65, 25, v34
	v_ashrrev_i32_e32 v37, 31, v37
	v_lshlrev_b32_e32 v40, 24, v34
	v_xor_b32_e32 v35, vcc_lo, v35
	v_cmp_gt_i32_e32 vcc_lo, 0, v38
	v_not_b32_e32 v38, v39
	v_xor_b32_e32 v66, s0, v66
	v_cmp_gt_i32_e64 s0, 0, v39
	v_and_b32_e32 v35, exec_lo, v35
	v_not_b32_e32 v39, v41
	v_ashrrev_i32_e32 v38, 31, v38
	v_xor_b32_e32 v37, vcc_lo, v37
	v_cmp_gt_i32_e32 vcc_lo, 0, v41
	v_and_b32_e32 v35, v35, v66
	v_not_b32_e32 v41, v64
	v_ashrrev_i32_e32 v39, 31, v39
	v_xor_b32_e32 v38, s0, v38
	v_cmp_gt_i32_e64 s0, 0, v64
	v_and_b32_e32 v35, v35, v37
	v_not_b32_e32 v37, v65
	v_ashrrev_i32_e32 v41, 31, v41
	v_xor_b32_e32 v39, vcc_lo, v39
	v_cmp_gt_i32_e32 vcc_lo, 0, v65
	v_and_b32_e32 v35, v35, v38
	v_not_b32_e32 v38, v40
	v_ashrrev_i32_e32 v37, 31, v37
	v_xor_b32_e32 v41, s0, v41
	v_lshl_add_u32 v34, v34, 3, v34
	v_and_b32_e32 v35, v35, v39
	v_cmp_gt_i32_e64 s0, 0, v40
	v_ashrrev_i32_e32 v38, 31, v38
	v_xor_b32_e32 v37, vcc_lo, v37
	v_add_lshl_u32 v66, v36, v34, 2
	v_and_b32_e32 v35, v35, v41
	s_delay_alu instid0(VALU_DEP_4) | instskip(SKIP_2) | instid1(VALU_DEP_1)
	v_xor_b32_e32 v34, s0, v38
	ds_load_b32 v64, v66 offset:32
	v_and_b32_e32 v35, v35, v37
	; wave barrier
	v_and_b32_e32 v34, v35, v34
	s_delay_alu instid0(VALU_DEP_1) | instskip(SKIP_1) | instid1(VALU_DEP_2)
	v_mbcnt_lo_u32_b32 v65, v34, 0
	v_cmp_ne_u32_e64 s0, 0, v34
	v_cmp_eq_u32_e32 vcc_lo, 0, v65
	s_delay_alu instid0(VALU_DEP_2) | instskip(NEXT) | instid1(SALU_CYCLE_1)
	s_and_b32 s4, s0, vcc_lo
	s_and_saveexec_b32 s0, s4
	s_cbranch_execz .LBB15_181
; %bb.180:
	s_waitcnt lgkmcnt(0)
	v_bcnt_u32_b32 v34, v34, v64
	ds_store_b32 v66, v34 offset:32
.LBB15_181:
	s_or_b32 exec_lo, exec_lo, s0
	v_xor_b32_e32 v31, 0x7fffffff, v31
	v_not_b32_e32 v30, v30
	; wave barrier
	s_delay_alu instid0(VALU_DEP_1) | instskip(NEXT) | instid1(VALU_DEP_1)
	v_lshrrev_b64 v[34:35], s48, v[30:31]
	v_and_b32_e32 v34, s1, v34
	s_delay_alu instid0(VALU_DEP_1)
	v_and_b32_e32 v35, 1, v34
	v_lshlrev_b32_e32 v37, 30, v34
	v_lshlrev_b32_e32 v38, 29, v34
	v_lshlrev_b32_e32 v39, 28, v34
	v_lshlrev_b32_e32 v41, 27, v34
	v_add_co_u32 v35, s0, v35, -1
	s_delay_alu instid0(VALU_DEP_1)
	v_cndmask_b32_e64 v40, 0, 1, s0
	v_not_b32_e32 v69, v37
	v_cmp_gt_i32_e64 s0, 0, v37
	v_not_b32_e32 v37, v38
	v_lshlrev_b32_e32 v67, 26, v34
	v_cmp_ne_u32_e32 vcc_lo, 0, v40
	v_ashrrev_i32_e32 v69, 31, v69
	v_lshlrev_b32_e32 v68, 25, v34
	v_ashrrev_i32_e32 v37, 31, v37
	v_lshlrev_b32_e32 v40, 24, v34
	v_xor_b32_e32 v35, vcc_lo, v35
	v_cmp_gt_i32_e32 vcc_lo, 0, v38
	v_not_b32_e32 v38, v39
	v_xor_b32_e32 v69, s0, v69
	v_cmp_gt_i32_e64 s0, 0, v39
	v_and_b32_e32 v35, exec_lo, v35
	v_not_b32_e32 v39, v41
	v_ashrrev_i32_e32 v38, 31, v38
	v_xor_b32_e32 v37, vcc_lo, v37
	v_cmp_gt_i32_e32 vcc_lo, 0, v41
	v_and_b32_e32 v35, v35, v69
	v_not_b32_e32 v41, v67
	v_ashrrev_i32_e32 v39, 31, v39
	v_xor_b32_e32 v38, s0, v38
	v_cmp_gt_i32_e64 s0, 0, v67
	v_and_b32_e32 v35, v35, v37
	v_not_b32_e32 v37, v68
	v_ashrrev_i32_e32 v41, 31, v41
	v_xor_b32_e32 v39, vcc_lo, v39
	v_cmp_gt_i32_e32 vcc_lo, 0, v68
	v_and_b32_e32 v35, v35, v38
	v_not_b32_e32 v38, v40
	v_ashrrev_i32_e32 v37, 31, v37
	v_xor_b32_e32 v41, s0, v41
	v_lshl_add_u32 v34, v34, 3, v34
	v_and_b32_e32 v35, v35, v39
	v_cmp_gt_i32_e64 s0, 0, v40
	v_ashrrev_i32_e32 v38, 31, v38
	v_xor_b32_e32 v37, vcc_lo, v37
	v_add_lshl_u32 v69, v36, v34, 2
	v_and_b32_e32 v35, v35, v41
	s_delay_alu instid0(VALU_DEP_4) | instskip(SKIP_2) | instid1(VALU_DEP_1)
	v_xor_b32_e32 v34, s0, v38
	ds_load_b32 v67, v69 offset:32
	v_and_b32_e32 v35, v35, v37
	; wave barrier
	v_and_b32_e32 v34, v35, v34
	s_delay_alu instid0(VALU_DEP_1) | instskip(SKIP_1) | instid1(VALU_DEP_2)
	v_mbcnt_lo_u32_b32 v68, v34, 0
	v_cmp_ne_u32_e64 s0, 0, v34
	v_cmp_eq_u32_e32 vcc_lo, 0, v68
	s_delay_alu instid0(VALU_DEP_2) | instskip(NEXT) | instid1(SALU_CYCLE_1)
	s_and_b32 s4, s0, vcc_lo
	s_and_saveexec_b32 s0, s4
	s_cbranch_execz .LBB15_183
; %bb.182:
	s_waitcnt lgkmcnt(0)
	v_bcnt_u32_b32 v34, v34, v67
	ds_store_b32 v69, v34 offset:32
.LBB15_183:
	s_or_b32 exec_lo, exec_lo, s0
	v_xor_b32_e32 v33, 0x7fffffff, v33
	v_not_b32_e32 v32, v32
	; wave barrier
	s_delay_alu instid0(VALU_DEP_1) | instskip(NEXT) | instid1(VALU_DEP_1)
	v_lshrrev_b64 v[34:35], s48, v[32:33]
	v_and_b32_e32 v34, s1, v34
	s_delay_alu instid0(VALU_DEP_1)
	v_and_b32_e32 v35, 1, v34
	v_lshlrev_b32_e32 v37, 30, v34
	v_lshlrev_b32_e32 v38, 29, v34
	;; [unrolled: 1-line block ×4, first 2 shown]
	v_add_co_u32 v35, s0, v35, -1
	s_delay_alu instid0(VALU_DEP_1)
	v_cndmask_b32_e64 v40, 0, 1, s0
	v_not_b32_e32 v72, v37
	v_cmp_gt_i32_e64 s0, 0, v37
	v_not_b32_e32 v37, v38
	v_lshlrev_b32_e32 v70, 26, v34
	v_cmp_ne_u32_e32 vcc_lo, 0, v40
	v_ashrrev_i32_e32 v72, 31, v72
	v_lshlrev_b32_e32 v71, 25, v34
	v_ashrrev_i32_e32 v37, 31, v37
	v_lshlrev_b32_e32 v40, 24, v34
	v_xor_b32_e32 v35, vcc_lo, v35
	v_cmp_gt_i32_e32 vcc_lo, 0, v38
	v_not_b32_e32 v38, v39
	v_xor_b32_e32 v72, s0, v72
	v_cmp_gt_i32_e64 s0, 0, v39
	v_and_b32_e32 v35, exec_lo, v35
	v_not_b32_e32 v39, v41
	v_ashrrev_i32_e32 v38, 31, v38
	v_xor_b32_e32 v37, vcc_lo, v37
	v_cmp_gt_i32_e32 vcc_lo, 0, v41
	v_and_b32_e32 v35, v35, v72
	v_not_b32_e32 v41, v70
	v_ashrrev_i32_e32 v39, 31, v39
	v_xor_b32_e32 v38, s0, v38
	v_cmp_gt_i32_e64 s0, 0, v70
	v_and_b32_e32 v35, v35, v37
	v_not_b32_e32 v37, v71
	v_ashrrev_i32_e32 v41, 31, v41
	v_xor_b32_e32 v39, vcc_lo, v39
	v_cmp_gt_i32_e32 vcc_lo, 0, v71
	v_and_b32_e32 v35, v35, v38
	v_not_b32_e32 v38, v40
	v_ashrrev_i32_e32 v37, 31, v37
	v_xor_b32_e32 v41, s0, v41
	v_lshl_add_u32 v34, v34, 3, v34
	v_and_b32_e32 v35, v35, v39
	v_cmp_gt_i32_e64 s0, 0, v40
	v_ashrrev_i32_e32 v38, 31, v38
	v_xor_b32_e32 v37, vcc_lo, v37
	v_add_lshl_u32 v72, v36, v34, 2
	v_and_b32_e32 v35, v35, v41
	s_delay_alu instid0(VALU_DEP_4) | instskip(SKIP_2) | instid1(VALU_DEP_1)
	v_xor_b32_e32 v34, s0, v38
	ds_load_b32 v70, v72 offset:32
	v_and_b32_e32 v35, v35, v37
	; wave barrier
	v_and_b32_e32 v34, v35, v34
	s_delay_alu instid0(VALU_DEP_1) | instskip(SKIP_1) | instid1(VALU_DEP_2)
	v_mbcnt_lo_u32_b32 v71, v34, 0
	v_cmp_ne_u32_e64 s0, 0, v34
	v_cmp_eq_u32_e32 vcc_lo, 0, v71
	s_delay_alu instid0(VALU_DEP_2) | instskip(NEXT) | instid1(SALU_CYCLE_1)
	s_and_b32 s4, s0, vcc_lo
	s_and_saveexec_b32 s0, s4
	s_cbranch_execz .LBB15_185
; %bb.184:
	s_waitcnt lgkmcnt(0)
	v_bcnt_u32_b32 v34, v34, v70
	ds_store_b32 v72, v34 offset:32
.LBB15_185:
	s_or_b32 exec_lo, exec_lo, s0
	v_xor_b32_e32 v29, 0x7fffffff, v29
	v_not_b32_e32 v28, v28
	; wave barrier
	s_delay_alu instid0(VALU_DEP_1) | instskip(NEXT) | instid1(VALU_DEP_1)
	v_lshrrev_b64 v[34:35], s48, v[28:29]
	v_and_b32_e32 v34, s1, v34
	s_delay_alu instid0(VALU_DEP_1)
	v_and_b32_e32 v35, 1, v34
	v_lshlrev_b32_e32 v37, 30, v34
	v_lshlrev_b32_e32 v38, 29, v34
	;; [unrolled: 1-line block ×4, first 2 shown]
	v_add_co_u32 v35, s0, v35, -1
	s_delay_alu instid0(VALU_DEP_1)
	v_cndmask_b32_e64 v40, 0, 1, s0
	v_not_b32_e32 v75, v37
	v_cmp_gt_i32_e64 s0, 0, v37
	v_not_b32_e32 v37, v38
	v_lshlrev_b32_e32 v73, 26, v34
	v_cmp_ne_u32_e32 vcc_lo, 0, v40
	v_ashrrev_i32_e32 v75, 31, v75
	v_lshlrev_b32_e32 v74, 25, v34
	v_ashrrev_i32_e32 v37, 31, v37
	v_lshlrev_b32_e32 v40, 24, v34
	v_xor_b32_e32 v35, vcc_lo, v35
	v_cmp_gt_i32_e32 vcc_lo, 0, v38
	v_not_b32_e32 v38, v39
	v_xor_b32_e32 v75, s0, v75
	v_cmp_gt_i32_e64 s0, 0, v39
	v_and_b32_e32 v35, exec_lo, v35
	v_not_b32_e32 v39, v41
	v_ashrrev_i32_e32 v38, 31, v38
	v_xor_b32_e32 v37, vcc_lo, v37
	v_cmp_gt_i32_e32 vcc_lo, 0, v41
	v_and_b32_e32 v35, v35, v75
	v_not_b32_e32 v41, v73
	v_ashrrev_i32_e32 v39, 31, v39
	v_xor_b32_e32 v38, s0, v38
	v_cmp_gt_i32_e64 s0, 0, v73
	v_and_b32_e32 v35, v35, v37
	v_not_b32_e32 v37, v74
	v_ashrrev_i32_e32 v41, 31, v41
	v_xor_b32_e32 v39, vcc_lo, v39
	v_cmp_gt_i32_e32 vcc_lo, 0, v74
	v_and_b32_e32 v35, v35, v38
	v_not_b32_e32 v38, v40
	v_ashrrev_i32_e32 v37, 31, v37
	v_xor_b32_e32 v41, s0, v41
	v_lshl_add_u32 v34, v34, 3, v34
	v_and_b32_e32 v35, v35, v39
	v_cmp_gt_i32_e64 s0, 0, v40
	v_ashrrev_i32_e32 v38, 31, v38
	v_xor_b32_e32 v37, vcc_lo, v37
	v_add_lshl_u32 v75, v36, v34, 2
	v_and_b32_e32 v35, v35, v41
	s_delay_alu instid0(VALU_DEP_4) | instskip(SKIP_2) | instid1(VALU_DEP_1)
	v_xor_b32_e32 v34, s0, v38
	ds_load_b32 v73, v75 offset:32
	v_and_b32_e32 v35, v35, v37
	; wave barrier
	v_and_b32_e32 v34, v35, v34
	s_delay_alu instid0(VALU_DEP_1) | instskip(SKIP_1) | instid1(VALU_DEP_2)
	v_mbcnt_lo_u32_b32 v74, v34, 0
	v_cmp_ne_u32_e64 s0, 0, v34
	v_cmp_eq_u32_e32 vcc_lo, 0, v74
	s_delay_alu instid0(VALU_DEP_2) | instskip(NEXT) | instid1(SALU_CYCLE_1)
	s_and_b32 s4, s0, vcc_lo
	s_and_saveexec_b32 s0, s4
	s_cbranch_execz .LBB15_187
; %bb.186:
	s_waitcnt lgkmcnt(0)
	v_bcnt_u32_b32 v34, v34, v73
	ds_store_b32 v75, v34 offset:32
.LBB15_187:
	s_or_b32 exec_lo, exec_lo, s0
	v_xor_b32_e32 v25, 0x7fffffff, v25
	v_not_b32_e32 v24, v24
	; wave barrier
	s_delay_alu instid0(VALU_DEP_1) | instskip(NEXT) | instid1(VALU_DEP_1)
	v_lshrrev_b64 v[34:35], s48, v[24:25]
	v_and_b32_e32 v34, s1, v34
	s_delay_alu instid0(VALU_DEP_1)
	v_and_b32_e32 v35, 1, v34
	v_lshlrev_b32_e32 v37, 30, v34
	v_lshlrev_b32_e32 v38, 29, v34
	;; [unrolled: 1-line block ×4, first 2 shown]
	v_add_co_u32 v35, s0, v35, -1
	s_delay_alu instid0(VALU_DEP_1)
	v_cndmask_b32_e64 v40, 0, 1, s0
	v_not_b32_e32 v78, v37
	v_cmp_gt_i32_e64 s0, 0, v37
	v_not_b32_e32 v37, v38
	v_lshlrev_b32_e32 v76, 26, v34
	v_cmp_ne_u32_e32 vcc_lo, 0, v40
	v_ashrrev_i32_e32 v78, 31, v78
	v_lshlrev_b32_e32 v77, 25, v34
	v_ashrrev_i32_e32 v37, 31, v37
	v_lshlrev_b32_e32 v40, 24, v34
	v_xor_b32_e32 v35, vcc_lo, v35
	v_cmp_gt_i32_e32 vcc_lo, 0, v38
	v_not_b32_e32 v38, v39
	v_xor_b32_e32 v78, s0, v78
	v_cmp_gt_i32_e64 s0, 0, v39
	v_and_b32_e32 v35, exec_lo, v35
	v_not_b32_e32 v39, v41
	v_ashrrev_i32_e32 v38, 31, v38
	v_xor_b32_e32 v37, vcc_lo, v37
	v_cmp_gt_i32_e32 vcc_lo, 0, v41
	v_and_b32_e32 v35, v35, v78
	v_not_b32_e32 v41, v76
	v_ashrrev_i32_e32 v39, 31, v39
	v_xor_b32_e32 v38, s0, v38
	v_cmp_gt_i32_e64 s0, 0, v76
	v_and_b32_e32 v35, v35, v37
	v_not_b32_e32 v37, v77
	v_ashrrev_i32_e32 v41, 31, v41
	v_xor_b32_e32 v39, vcc_lo, v39
	v_cmp_gt_i32_e32 vcc_lo, 0, v77
	v_and_b32_e32 v35, v35, v38
	v_not_b32_e32 v38, v40
	v_ashrrev_i32_e32 v37, 31, v37
	v_xor_b32_e32 v41, s0, v41
	v_lshl_add_u32 v34, v34, 3, v34
	v_and_b32_e32 v35, v35, v39
	v_cmp_gt_i32_e64 s0, 0, v40
	v_ashrrev_i32_e32 v38, 31, v38
	v_xor_b32_e32 v37, vcc_lo, v37
	v_add_lshl_u32 v78, v36, v34, 2
	v_and_b32_e32 v35, v35, v41
	s_delay_alu instid0(VALU_DEP_4) | instskip(SKIP_2) | instid1(VALU_DEP_1)
	v_xor_b32_e32 v34, s0, v38
	ds_load_b32 v76, v78 offset:32
	v_and_b32_e32 v35, v35, v37
	; wave barrier
	v_and_b32_e32 v34, v35, v34
	s_delay_alu instid0(VALU_DEP_1) | instskip(SKIP_1) | instid1(VALU_DEP_2)
	v_mbcnt_lo_u32_b32 v77, v34, 0
	v_cmp_ne_u32_e64 s0, 0, v34
	v_cmp_eq_u32_e32 vcc_lo, 0, v77
	s_delay_alu instid0(VALU_DEP_2) | instskip(NEXT) | instid1(SALU_CYCLE_1)
	s_and_b32 s4, s0, vcc_lo
	s_and_saveexec_b32 s0, s4
	s_cbranch_execz .LBB15_189
; %bb.188:
	s_waitcnt lgkmcnt(0)
	v_bcnt_u32_b32 v34, v34, v76
	ds_store_b32 v78, v34 offset:32
.LBB15_189:
	s_or_b32 exec_lo, exec_lo, s0
	v_xor_b32_e32 v21, 0x7fffffff, v21
	v_not_b32_e32 v20, v20
	; wave barrier
	s_delay_alu instid0(VALU_DEP_1) | instskip(NEXT) | instid1(VALU_DEP_1)
	v_lshrrev_b64 v[34:35], s48, v[20:21]
	v_and_b32_e32 v34, s1, v34
	s_delay_alu instid0(VALU_DEP_1)
	v_and_b32_e32 v35, 1, v34
	v_lshlrev_b32_e32 v37, 30, v34
	v_lshlrev_b32_e32 v38, 29, v34
	;; [unrolled: 1-line block ×4, first 2 shown]
	v_add_co_u32 v35, s0, v35, -1
	s_delay_alu instid0(VALU_DEP_1)
	v_cndmask_b32_e64 v40, 0, 1, s0
	v_not_b32_e32 v81, v37
	v_cmp_gt_i32_e64 s0, 0, v37
	v_not_b32_e32 v37, v38
	v_lshlrev_b32_e32 v79, 26, v34
	v_cmp_ne_u32_e32 vcc_lo, 0, v40
	v_ashrrev_i32_e32 v81, 31, v81
	v_lshlrev_b32_e32 v80, 25, v34
	v_ashrrev_i32_e32 v37, 31, v37
	v_lshlrev_b32_e32 v40, 24, v34
	v_xor_b32_e32 v35, vcc_lo, v35
	v_cmp_gt_i32_e32 vcc_lo, 0, v38
	v_not_b32_e32 v38, v39
	v_xor_b32_e32 v81, s0, v81
	v_cmp_gt_i32_e64 s0, 0, v39
	v_and_b32_e32 v35, exec_lo, v35
	v_not_b32_e32 v39, v41
	v_ashrrev_i32_e32 v38, 31, v38
	v_xor_b32_e32 v37, vcc_lo, v37
	v_cmp_gt_i32_e32 vcc_lo, 0, v41
	v_and_b32_e32 v35, v35, v81
	v_not_b32_e32 v41, v79
	v_ashrrev_i32_e32 v39, 31, v39
	v_xor_b32_e32 v38, s0, v38
	v_cmp_gt_i32_e64 s0, 0, v79
	v_and_b32_e32 v35, v35, v37
	v_not_b32_e32 v37, v80
	v_ashrrev_i32_e32 v41, 31, v41
	v_xor_b32_e32 v39, vcc_lo, v39
	v_cmp_gt_i32_e32 vcc_lo, 0, v80
	v_and_b32_e32 v35, v35, v38
	v_not_b32_e32 v38, v40
	v_ashrrev_i32_e32 v37, 31, v37
	v_xor_b32_e32 v41, s0, v41
	v_lshl_add_u32 v34, v34, 3, v34
	v_and_b32_e32 v35, v35, v39
	v_cmp_gt_i32_e64 s0, 0, v40
	v_ashrrev_i32_e32 v38, 31, v38
	v_xor_b32_e32 v37, vcc_lo, v37
	v_add_lshl_u32 v81, v36, v34, 2
	v_and_b32_e32 v35, v35, v41
	s_delay_alu instid0(VALU_DEP_4) | instskip(SKIP_2) | instid1(VALU_DEP_1)
	v_xor_b32_e32 v34, s0, v38
	ds_load_b32 v79, v81 offset:32
	v_and_b32_e32 v35, v35, v37
	; wave barrier
	v_and_b32_e32 v34, v35, v34
	s_delay_alu instid0(VALU_DEP_1) | instskip(SKIP_1) | instid1(VALU_DEP_2)
	v_mbcnt_lo_u32_b32 v80, v34, 0
	v_cmp_ne_u32_e64 s0, 0, v34
	v_cmp_eq_u32_e32 vcc_lo, 0, v80
	s_delay_alu instid0(VALU_DEP_2) | instskip(NEXT) | instid1(SALU_CYCLE_1)
	s_and_b32 s4, s0, vcc_lo
	s_and_saveexec_b32 s0, s4
	s_cbranch_execz .LBB15_191
; %bb.190:
	s_waitcnt lgkmcnt(0)
	v_bcnt_u32_b32 v34, v34, v79
	ds_store_b32 v81, v34 offset:32
.LBB15_191:
	s_or_b32 exec_lo, exec_lo, s0
	v_xor_b32_e32 v17, 0x7fffffff, v17
	v_not_b32_e32 v16, v16
	; wave barrier
	s_delay_alu instid0(VALU_DEP_1) | instskip(NEXT) | instid1(VALU_DEP_1)
	v_lshrrev_b64 v[34:35], s48, v[16:17]
	v_and_b32_e32 v34, s1, v34
	s_delay_alu instid0(VALU_DEP_1)
	v_and_b32_e32 v35, 1, v34
	v_lshlrev_b32_e32 v37, 30, v34
	v_lshlrev_b32_e32 v38, 29, v34
	;; [unrolled: 1-line block ×4, first 2 shown]
	v_add_co_u32 v35, s0, v35, -1
	s_delay_alu instid0(VALU_DEP_1)
	v_cndmask_b32_e64 v40, 0, 1, s0
	v_not_b32_e32 v84, v37
	v_cmp_gt_i32_e64 s0, 0, v37
	v_not_b32_e32 v37, v38
	v_lshlrev_b32_e32 v82, 26, v34
	v_cmp_ne_u32_e32 vcc_lo, 0, v40
	v_ashrrev_i32_e32 v84, 31, v84
	v_lshlrev_b32_e32 v83, 25, v34
	v_ashrrev_i32_e32 v37, 31, v37
	v_lshlrev_b32_e32 v40, 24, v34
	v_xor_b32_e32 v35, vcc_lo, v35
	v_cmp_gt_i32_e32 vcc_lo, 0, v38
	v_not_b32_e32 v38, v39
	v_xor_b32_e32 v84, s0, v84
	v_cmp_gt_i32_e64 s0, 0, v39
	v_and_b32_e32 v35, exec_lo, v35
	v_not_b32_e32 v39, v41
	v_ashrrev_i32_e32 v38, 31, v38
	v_xor_b32_e32 v37, vcc_lo, v37
	v_cmp_gt_i32_e32 vcc_lo, 0, v41
	v_and_b32_e32 v35, v35, v84
	v_not_b32_e32 v41, v82
	v_ashrrev_i32_e32 v39, 31, v39
	v_xor_b32_e32 v38, s0, v38
	v_cmp_gt_i32_e64 s0, 0, v82
	v_and_b32_e32 v35, v35, v37
	v_not_b32_e32 v37, v83
	v_ashrrev_i32_e32 v41, 31, v41
	v_xor_b32_e32 v39, vcc_lo, v39
	v_cmp_gt_i32_e32 vcc_lo, 0, v83
	v_and_b32_e32 v35, v35, v38
	v_not_b32_e32 v38, v40
	v_ashrrev_i32_e32 v37, 31, v37
	v_xor_b32_e32 v41, s0, v41
	v_lshl_add_u32 v34, v34, 3, v34
	v_and_b32_e32 v35, v35, v39
	v_cmp_gt_i32_e64 s0, 0, v40
	v_ashrrev_i32_e32 v38, 31, v38
	v_xor_b32_e32 v37, vcc_lo, v37
	v_add_lshl_u32 v84, v36, v34, 2
	v_and_b32_e32 v35, v35, v41
	s_delay_alu instid0(VALU_DEP_4) | instskip(SKIP_2) | instid1(VALU_DEP_1)
	v_xor_b32_e32 v34, s0, v38
	ds_load_b32 v82, v84 offset:32
	v_and_b32_e32 v35, v35, v37
	; wave barrier
	v_and_b32_e32 v34, v35, v34
	s_delay_alu instid0(VALU_DEP_1) | instskip(SKIP_1) | instid1(VALU_DEP_2)
	v_mbcnt_lo_u32_b32 v83, v34, 0
	v_cmp_ne_u32_e64 s0, 0, v34
	v_cmp_eq_u32_e32 vcc_lo, 0, v83
	s_delay_alu instid0(VALU_DEP_2) | instskip(NEXT) | instid1(SALU_CYCLE_1)
	s_and_b32 s4, s0, vcc_lo
	s_and_saveexec_b32 s0, s4
	s_cbranch_execz .LBB15_193
; %bb.192:
	s_waitcnt lgkmcnt(0)
	v_bcnt_u32_b32 v34, v34, v82
	ds_store_b32 v84, v34 offset:32
.LBB15_193:
	s_or_b32 exec_lo, exec_lo, s0
	v_xor_b32_e32 v13, 0x7fffffff, v13
	v_not_b32_e32 v12, v12
	; wave barrier
	s_delay_alu instid0(VALU_DEP_1) | instskip(NEXT) | instid1(VALU_DEP_1)
	v_lshrrev_b64 v[34:35], s48, v[12:13]
	v_and_b32_e32 v34, s1, v34
	s_delay_alu instid0(VALU_DEP_1)
	v_and_b32_e32 v35, 1, v34
	v_lshlrev_b32_e32 v37, 30, v34
	v_lshlrev_b32_e32 v38, 29, v34
	;; [unrolled: 1-line block ×4, first 2 shown]
	v_add_co_u32 v35, s0, v35, -1
	s_delay_alu instid0(VALU_DEP_1)
	v_cndmask_b32_e64 v40, 0, 1, s0
	v_not_b32_e32 v87, v37
	v_cmp_gt_i32_e64 s0, 0, v37
	v_not_b32_e32 v37, v38
	v_lshlrev_b32_e32 v85, 26, v34
	v_cmp_ne_u32_e32 vcc_lo, 0, v40
	v_ashrrev_i32_e32 v87, 31, v87
	v_lshlrev_b32_e32 v86, 25, v34
	v_ashrrev_i32_e32 v37, 31, v37
	v_lshlrev_b32_e32 v40, 24, v34
	v_xor_b32_e32 v35, vcc_lo, v35
	v_cmp_gt_i32_e32 vcc_lo, 0, v38
	v_not_b32_e32 v38, v39
	v_xor_b32_e32 v87, s0, v87
	v_cmp_gt_i32_e64 s0, 0, v39
	v_and_b32_e32 v35, exec_lo, v35
	v_not_b32_e32 v39, v41
	v_ashrrev_i32_e32 v38, 31, v38
	v_xor_b32_e32 v37, vcc_lo, v37
	v_cmp_gt_i32_e32 vcc_lo, 0, v41
	v_and_b32_e32 v35, v35, v87
	v_not_b32_e32 v41, v85
	v_ashrrev_i32_e32 v39, 31, v39
	v_xor_b32_e32 v38, s0, v38
	v_cmp_gt_i32_e64 s0, 0, v85
	v_and_b32_e32 v35, v35, v37
	v_not_b32_e32 v37, v86
	v_ashrrev_i32_e32 v41, 31, v41
	v_xor_b32_e32 v39, vcc_lo, v39
	v_cmp_gt_i32_e32 vcc_lo, 0, v86
	v_and_b32_e32 v35, v35, v38
	v_not_b32_e32 v38, v40
	v_ashrrev_i32_e32 v37, 31, v37
	v_xor_b32_e32 v41, s0, v41
	v_lshl_add_u32 v34, v34, 3, v34
	v_and_b32_e32 v35, v35, v39
	v_cmp_gt_i32_e64 s0, 0, v40
	v_ashrrev_i32_e32 v38, 31, v38
	v_xor_b32_e32 v37, vcc_lo, v37
	v_add_lshl_u32 v87, v36, v34, 2
	v_and_b32_e32 v35, v35, v41
	s_delay_alu instid0(VALU_DEP_4) | instskip(SKIP_2) | instid1(VALU_DEP_1)
	v_xor_b32_e32 v34, s0, v38
	ds_load_b32 v85, v87 offset:32
	v_and_b32_e32 v35, v35, v37
	; wave barrier
	v_and_b32_e32 v34, v35, v34
	s_delay_alu instid0(VALU_DEP_1) | instskip(SKIP_1) | instid1(VALU_DEP_2)
	v_mbcnt_lo_u32_b32 v86, v34, 0
	v_cmp_ne_u32_e64 s0, 0, v34
	v_cmp_eq_u32_e32 vcc_lo, 0, v86
	s_delay_alu instid0(VALU_DEP_2) | instskip(NEXT) | instid1(SALU_CYCLE_1)
	s_and_b32 s4, s0, vcc_lo
	s_and_saveexec_b32 s0, s4
	s_cbranch_execz .LBB15_195
; %bb.194:
	s_waitcnt lgkmcnt(0)
	v_bcnt_u32_b32 v34, v34, v85
	ds_store_b32 v87, v34 offset:32
.LBB15_195:
	s_or_b32 exec_lo, exec_lo, s0
	v_xor_b32_e32 v35, 0x7fffffff, v3
	v_not_b32_e32 v34, v2
	; wave barrier
	v_add_nc_u32_e32 v91, 32, v44
	s_delay_alu instid0(VALU_DEP_2) | instskip(NEXT) | instid1(VALU_DEP_1)
	v_lshrrev_b64 v[2:3], s48, v[34:35]
	v_and_b32_e32 v2, s1, v2
	s_delay_alu instid0(VALU_DEP_1)
	v_and_b32_e32 v3, 1, v2
	v_lshlrev_b32_e32 v37, 30, v2
	v_lshlrev_b32_e32 v38, 29, v2
	;; [unrolled: 1-line block ×4, first 2 shown]
	v_add_co_u32 v3, s0, v3, -1
	s_delay_alu instid0(VALU_DEP_1)
	v_cndmask_b32_e64 v40, 0, 1, s0
	v_not_b32_e32 v90, v37
	v_cmp_gt_i32_e64 s0, 0, v37
	v_not_b32_e32 v37, v38
	v_lshlrev_b32_e32 v88, 26, v2
	v_cmp_ne_u32_e32 vcc_lo, 0, v40
	v_ashrrev_i32_e32 v90, 31, v90
	v_lshlrev_b32_e32 v89, 25, v2
	v_ashrrev_i32_e32 v37, 31, v37
	v_lshlrev_b32_e32 v40, 24, v2
	v_xor_b32_e32 v3, vcc_lo, v3
	v_cmp_gt_i32_e32 vcc_lo, 0, v38
	v_not_b32_e32 v38, v39
	v_xor_b32_e32 v90, s0, v90
	v_cmp_gt_i32_e64 s0, 0, v39
	v_and_b32_e32 v3, exec_lo, v3
	v_not_b32_e32 v39, v41
	v_ashrrev_i32_e32 v38, 31, v38
	v_xor_b32_e32 v37, vcc_lo, v37
	v_cmp_gt_i32_e32 vcc_lo, 0, v41
	v_and_b32_e32 v3, v3, v90
	v_not_b32_e32 v41, v88
	v_ashrrev_i32_e32 v39, 31, v39
	v_xor_b32_e32 v38, s0, v38
	v_cmp_gt_i32_e64 s0, 0, v88
	v_and_b32_e32 v3, v3, v37
	v_not_b32_e32 v37, v89
	v_ashrrev_i32_e32 v41, 31, v41
	v_xor_b32_e32 v39, vcc_lo, v39
	v_cmp_gt_i32_e32 vcc_lo, 0, v89
	v_and_b32_e32 v3, v3, v38
	v_not_b32_e32 v38, v40
	v_ashrrev_i32_e32 v37, 31, v37
	v_xor_b32_e32 v41, s0, v41
	v_lshl_add_u32 v2, v2, 3, v2
	v_and_b32_e32 v3, v3, v39
	v_cmp_gt_i32_e64 s0, 0, v40
	v_ashrrev_i32_e32 v38, 31, v38
	v_xor_b32_e32 v37, vcc_lo, v37
	v_add_lshl_u32 v90, v36, v2, 2
	v_and_b32_e32 v3, v3, v41
	s_delay_alu instid0(VALU_DEP_4) | instskip(SKIP_2) | instid1(VALU_DEP_1)
	v_xor_b32_e32 v2, s0, v38
	ds_load_b32 v88, v90 offset:32
	v_and_b32_e32 v3, v3, v37
	; wave barrier
	v_and_b32_e32 v2, v3, v2
	s_delay_alu instid0(VALU_DEP_1) | instskip(SKIP_1) | instid1(VALU_DEP_2)
	v_mbcnt_lo_u32_b32 v89, v2, 0
	v_cmp_ne_u32_e64 s0, 0, v2
	v_cmp_eq_u32_e32 vcc_lo, 0, v89
	s_delay_alu instid0(VALU_DEP_2) | instskip(NEXT) | instid1(SALU_CYCLE_1)
	s_and_b32 s4, s0, vcc_lo
	s_and_saveexec_b32 s0, s4
	s_cbranch_execz .LBB15_197
; %bb.196:
	s_waitcnt lgkmcnt(0)
	v_bcnt_u32_b32 v2, v2, v88
	ds_store_b32 v90, v2 offset:32
.LBB15_197:
	s_or_b32 exec_lo, exec_lo, s0
	; wave barrier
	s_waitcnt lgkmcnt(0)
	s_barrier
	buffer_gl0_inv
	ds_load_2addr_b32 v[40:41], v44 offset0:8 offset1:9
	ds_load_2addr_b32 v[38:39], v91 offset0:2 offset1:3
	;; [unrolled: 1-line block ×4, first 2 shown]
	ds_load_b32 v92, v91 offset:32
	v_bfe_i32 v95, v42, 4, 1
	s_mov_b32 s0, exec_lo
	s_waitcnt lgkmcnt(3)
	v_add3_u32 v93, v41, v40, v38
	s_waitcnt lgkmcnt(2)
	s_delay_alu instid0(VALU_DEP_1) | instskip(SKIP_1) | instid1(VALU_DEP_1)
	v_add3_u32 v93, v93, v39, v36
	s_waitcnt lgkmcnt(1)
	v_add3_u32 v93, v93, v37, v2
	s_waitcnt lgkmcnt(0)
	s_delay_alu instid0(VALU_DEP_1) | instskip(SKIP_1) | instid1(VALU_DEP_2)
	v_add3_u32 v92, v93, v3, v92
	v_and_b32_e32 v93, 15, v42
	v_mov_b32_dpp v94, v92 row_shr:1 row_mask:0xf bank_mask:0xf
	s_delay_alu instid0(VALU_DEP_2) | instskip(NEXT) | instid1(VALU_DEP_2)
	v_cmp_ne_u32_e32 vcc_lo, 0, v93
	v_cndmask_b32_e32 v94, 0, v94, vcc_lo
	v_cmp_lt_u32_e32 vcc_lo, 1, v93
	s_delay_alu instid0(VALU_DEP_2) | instskip(NEXT) | instid1(VALU_DEP_1)
	v_add_nc_u32_e32 v92, v94, v92
	v_mov_b32_dpp v94, v92 row_shr:2 row_mask:0xf bank_mask:0xf
	s_delay_alu instid0(VALU_DEP_1) | instskip(SKIP_1) | instid1(VALU_DEP_2)
	v_cndmask_b32_e32 v94, 0, v94, vcc_lo
	v_cmp_lt_u32_e32 vcc_lo, 3, v93
	v_add_nc_u32_e32 v92, v92, v94
	s_delay_alu instid0(VALU_DEP_1) | instskip(NEXT) | instid1(VALU_DEP_1)
	v_mov_b32_dpp v94, v92 row_shr:4 row_mask:0xf bank_mask:0xf
	v_cndmask_b32_e32 v94, 0, v94, vcc_lo
	v_cmp_lt_u32_e32 vcc_lo, 7, v93
	s_delay_alu instid0(VALU_DEP_2) | instskip(NEXT) | instid1(VALU_DEP_1)
	v_add_nc_u32_e32 v92, v92, v94
	v_mov_b32_dpp v94, v92 row_shr:8 row_mask:0xf bank_mask:0xf
	s_delay_alu instid0(VALU_DEP_1) | instskip(NEXT) | instid1(VALU_DEP_1)
	v_dual_cndmask_b32 v93, 0, v94 :: v_dual_and_b32 v94, 0x3e0, v1
	v_add_nc_u32_e32 v92, v92, v93
	s_delay_alu instid0(VALU_DEP_2)
	v_min_u32_e32 v94, 0xe0, v94
	ds_swizzle_b32 v93, v92 offset:swizzle(BROADCAST,32,15)
	v_or_b32_e32 v94, 31, v94
	s_waitcnt lgkmcnt(0)
	v_and_b32_e32 v95, v95, v93
	v_lshrrev_b32_e32 v93, 5, v1
	s_delay_alu instid0(VALU_DEP_2)
	v_add_nc_u32_e32 v92, v92, v95
	v_cmpx_eq_u32_e64 v94, v1
	s_cbranch_execz .LBB15_199
; %bb.198:
	s_delay_alu instid0(VALU_DEP_3)
	v_lshlrev_b32_e32 v94, 2, v93
	ds_store_b32 v94, v92
.LBB15_199:
	s_or_b32 exec_lo, exec_lo, s0
	s_delay_alu instid0(SALU_CYCLE_1)
	s_mov_b32 s0, exec_lo
	s_waitcnt lgkmcnt(0)
	s_barrier
	buffer_gl0_inv
	v_cmpx_gt_u32_e32 8, v1
	s_cbranch_execz .LBB15_201
; %bb.200:
	v_lshlrev_b32_e32 v94, 2, v1
	ds_load_b32 v95, v94
	s_waitcnt lgkmcnt(0)
	v_mov_b32_dpp v97, v95 row_shr:1 row_mask:0xf bank_mask:0xf
	v_and_b32_e32 v96, 7, v42
	s_delay_alu instid0(VALU_DEP_1) | instskip(NEXT) | instid1(VALU_DEP_3)
	v_cmp_ne_u32_e32 vcc_lo, 0, v96
	v_cndmask_b32_e32 v97, 0, v97, vcc_lo
	v_cmp_lt_u32_e32 vcc_lo, 1, v96
	s_delay_alu instid0(VALU_DEP_2) | instskip(NEXT) | instid1(VALU_DEP_1)
	v_add_nc_u32_e32 v95, v97, v95
	v_mov_b32_dpp v97, v95 row_shr:2 row_mask:0xf bank_mask:0xf
	s_delay_alu instid0(VALU_DEP_1) | instskip(SKIP_1) | instid1(VALU_DEP_2)
	v_cndmask_b32_e32 v97, 0, v97, vcc_lo
	v_cmp_lt_u32_e32 vcc_lo, 3, v96
	v_add_nc_u32_e32 v95, v95, v97
	s_delay_alu instid0(VALU_DEP_1) | instskip(NEXT) | instid1(VALU_DEP_1)
	v_mov_b32_dpp v97, v95 row_shr:4 row_mask:0xf bank_mask:0xf
	v_cndmask_b32_e32 v96, 0, v97, vcc_lo
	s_delay_alu instid0(VALU_DEP_1)
	v_add_nc_u32_e32 v95, v95, v96
	ds_store_b32 v94, v95
.LBB15_201:
	s_or_b32 exec_lo, exec_lo, s0
	v_mov_b32_e32 v94, 0
	s_mov_b32 s0, exec_lo
	s_waitcnt lgkmcnt(0)
	s_barrier
	buffer_gl0_inv
	v_cmpx_lt_u32_e32 31, v1
	s_cbranch_execz .LBB15_203
; %bb.202:
	v_lshl_add_u32 v93, v93, 2, -4
	ds_load_b32 v94, v93
.LBB15_203:
	s_or_b32 exec_lo, exec_lo, s0
	v_add_nc_u32_e32 v93, -1, v42
	s_mov_b32 s0, 0
	s_mov_b32 s4, exec_lo
	s_waitcnt lgkmcnt(0)
	v_add_nc_u32_e32 v92, v94, v92
	v_cmp_gt_i32_e32 vcc_lo, 0, v93
	v_cndmask_b32_e32 v93, v93, v42, vcc_lo
	v_cmp_eq_u32_e32 vcc_lo, 0, v42
	s_delay_alu instid0(VALU_DEP_2) | instskip(SKIP_4) | instid1(VALU_DEP_2)
	v_lshlrev_b32_e32 v93, 2, v93
	ds_bpermute_b32 v92, v93, v92
	s_waitcnt lgkmcnt(0)
	v_cndmask_b32_e32 v92, v92, v94, vcc_lo
	v_cmp_ne_u32_e32 vcc_lo, 0, v1
	v_cndmask_b32_e32 v92, 0, v92, vcc_lo
	s_delay_alu instid0(VALU_DEP_1) | instskip(NEXT) | instid1(VALU_DEP_1)
	v_add_nc_u32_e32 v40, v92, v40
	v_add_nc_u32_e32 v41, v40, v41
	s_delay_alu instid0(VALU_DEP_1) | instskip(NEXT) | instid1(VALU_DEP_1)
	v_add_nc_u32_e32 v38, v41, v38
	v_add_nc_u32_e32 v39, v38, v39
	;; [unrolled: 3-line block ×4, first 2 shown]
	ds_store_2addr_b32 v44, v92, v40 offset0:8 offset1:9
	ds_store_2addr_b32 v91, v41, v38 offset0:2 offset1:3
	;; [unrolled: 1-line block ×4, first 2 shown]
	ds_store_b32 v91, v3 offset:32
	v_mov_b32_e32 v2, 0x1000
	s_waitcnt lgkmcnt(0)
	s_barrier
	buffer_gl0_inv
	ds_load_b32 v36, v48 offset:32
	ds_load_b32 v37, v51 offset:32
	;; [unrolled: 1-line block ×17, first 2 shown]
	v_add_nc_u32_e32 v44, 1, v1
	s_delay_alu instid0(VALU_DEP_1)
	v_cmpx_ne_u32_e32 0x100, v44
	s_cbranch_execz .LBB15_205
; %bb.204:
	v_mul_u32_u24_e32 v2, 9, v44
	s_delay_alu instid0(VALU_DEP_1)
	v_lshlrev_b32_e32 v2, 2, v2
	ds_load_b32 v2, v2 offset:32
.LBB15_205:
	s_or_b32 exec_lo, exec_lo, s4
	s_waitcnt lgkmcnt(1)
	v_add_nc_u32_e32 v0, v45, v0
	v_add3_u32 v36, v47, v46, v36
	v_add3_u32 v37, v50, v49, v37
	;; [unrolled: 1-line block ×4, first 2 shown]
	v_lshlrev_b32_e32 v53, 3, v0
	v_lshlrev_b32_e32 v54, 3, v36
	v_add3_u32 v39, v56, v55, v39
	v_add3_u32 v40, v59, v58, v40
	;; [unrolled: 1-line block ×4, first 2 shown]
	s_waitcnt lgkmcnt(0)
	s_barrier
	buffer_gl0_inv
	ds_store_b64 v53, v[4:5] offset:2048
	ds_store_b64 v54, v[6:7] offset:2048
	v_lshlrev_b32_e32 v4, 3, v37
	v_add3_u32 v45, v68, v67, v51
	v_lshlrev_b32_e32 v5, 3, v38
	v_lshlrev_b32_e32 v6, 3, v39
	v_add3_u32 v47, v74, v73, v57
	v_lshlrev_b32_e32 v7, 3, v40
	v_add3_u32 v48, v77, v76, v60
	;; [unrolled: 2-line block ×3, first 2 shown]
	ds_store_b64 v4, v[8:9] offset:2048
	ds_store_b64 v5, v[10:11] offset:2048
	;; [unrolled: 1-line block ×5, first 2 shown]
	v_lshlrev_b32_e32 v4, 3, v44
	v_lshlrev_b32_e32 v5, 3, v45
	;; [unrolled: 1-line block ×3, first 2 shown]
	v_add3_u32 v50, v83, v82, v66
	v_lshlrev_b32_e32 v7, 3, v47
	v_add3_u32 v51, v86, v85, v69
	v_lshlrev_b32_e32 v8, 3, v48
	v_add3_u32 v52, v89, v88, v72
	ds_store_b64 v4, v[26:27] offset:2048
	ds_store_b64 v5, v[30:31] offset:2048
	;; [unrolled: 1-line block ×5, first 2 shown]
	v_lshlrev_b32_e32 v6, 3, v49
	v_lshl_add_u32 v4, s15, 8, v1
	v_dual_mov_b32 v5, 0 :: v_dual_lshlrev_b32 v8, 3, v50
	v_lshlrev_b32_e32 v9, 3, v51
	v_lshlrev_b32_e32 v10, 3, v52
	ds_store_b64 v6, v[20:21] offset:2048
	v_lshlrev_b64 v[6:7], 2, v[4:5]
	ds_store_b64 v8, v[16:17] offset:2048
	ds_store_b64 v9, v[12:13] offset:2048
	;; [unrolled: 1-line block ×3, first 2 shown]
	v_sub_nc_u32_e32 v10, v2, v3
	v_mov_b32_e32 v2, 0
	s_waitcnt lgkmcnt(0)
	s_barrier
	v_add_co_u32 v6, vcc_lo, s52, v6
	v_add_co_ci_u32_e32 v7, vcc_lo, s53, v7, vcc_lo
	v_or_b32_e32 v4, 2.0, v10
	buffer_gl0_inv
                                        ; implicit-def: $sgpr4
	global_store_b32 v[6:7], v4, off
	s_branch .LBB15_208
	.p2align	6
.LBB15_206:                             ;   in Loop: Header=BB15_208 Depth=1
	s_or_b32 exec_lo, exec_lo, s5
.LBB15_207:                             ;   in Loop: Header=BB15_208 Depth=1
	s_delay_alu instid0(SALU_CYCLE_1) | instskip(SKIP_2) | instid1(VALU_DEP_2)
	s_or_b32 exec_lo, exec_lo, s4
	v_and_b32_e32 v8, 0x3fffffff, v11
	v_cmp_eq_u32_e64 s4, 0x80000000, v4
	v_add_nc_u32_e32 v2, v8, v2
	s_delay_alu instid0(VALU_DEP_2) | instskip(NEXT) | instid1(SALU_CYCLE_1)
	s_and_b32 s5, exec_lo, s4
	s_or_b32 s0, s5, s0
	s_delay_alu instid0(SALU_CYCLE_1)
	s_and_not1_b32 exec_lo, exec_lo, s0
	s_cbranch_execz .LBB15_213
.LBB15_208:                             ; =>This Loop Header: Depth=1
                                        ;     Child Loop BB15_211 Depth 2
	s_or_b32 s4, s4, exec_lo
	s_cmp_eq_u32 s54, 0
	s_cbranch_scc1 .LBB15_212
; %bb.209:                              ;   in Loop: Header=BB15_208 Depth=1
	s_add_i32 s54, s54, -1
	s_mov_b32 s4, exec_lo
	v_lshl_add_u32 v4, s54, 8, v1
	s_delay_alu instid0(VALU_DEP_1) | instskip(NEXT) | instid1(VALU_DEP_1)
	v_lshlrev_b64 v[8:9], 2, v[4:5]
	v_add_co_u32 v8, vcc_lo, s52, v8
	s_delay_alu instid0(VALU_DEP_2) | instskip(SKIP_3) | instid1(VALU_DEP_1)
	v_add_co_ci_u32_e32 v9, vcc_lo, s53, v9, vcc_lo
	global_load_b32 v11, v[8:9], off glc
	s_waitcnt vmcnt(0)
	v_and_b32_e32 v4, -2.0, v11
	v_cmpx_eq_u32_e32 0, v4
	s_cbranch_execz .LBB15_207
; %bb.210:                              ;   in Loop: Header=BB15_208 Depth=1
	s_mov_b32 s5, 0
.LBB15_211:                             ;   Parent Loop BB15_208 Depth=1
                                        ; =>  This Inner Loop Header: Depth=2
	global_load_b32 v11, v[8:9], off glc
	s_waitcnt vmcnt(0)
	v_and_b32_e32 v4, -2.0, v11
	s_delay_alu instid0(VALU_DEP_1) | instskip(SKIP_1) | instid1(SALU_CYCLE_1)
	v_cmp_ne_u32_e32 vcc_lo, 0, v4
	s_or_b32 s5, vcc_lo, s5
	s_and_not1_b32 exec_lo, exec_lo, s5
	s_cbranch_execnz .LBB15_211
	s_branch .LBB15_206
.LBB15_212:                             ;   in Loop: Header=BB15_208 Depth=1
                                        ; implicit-def: $sgpr54
	s_and_b32 s5, exec_lo, s4
	s_delay_alu instid0(SALU_CYCLE_1) | instskip(NEXT) | instid1(SALU_CYCLE_1)
	s_or_b32 s0, s5, s0
	s_and_not1_b32 exec_lo, exec_lo, s0
	s_cbranch_execnz .LBB15_208
.LBB15_213:
	s_or_b32 exec_lo, exec_lo, s0
	v_add_nc_u32_e32 v4, v2, v10
	v_lshlrev_b32_e32 v8, 3, v1
	v_sub_co_u32 v2, s0, v2, v3
	s_delay_alu instid0(VALU_DEP_3) | instskip(NEXT) | instid1(VALU_DEP_3)
	v_or_b32_e32 v4, 0x80000000, v4
	v_add_nc_u32_e32 v35, 0x1000, v8
	v_add_nc_u32_e32 v89, 0x1800, v8
	;; [unrolled: 1-line block ×4, first 2 shown]
	global_store_b32 v[6:7], v4, off
	global_load_b64 v[4:5], v8, s[44:45]
	v_sub_co_ci_u32_e64 v6, null, 0, 0, s0
	s_add_u32 s0, s40, s2
	s_addc_u32 s2, s41, 0
	v_add_co_u32 v9, s0, s0, v42
	s_delay_alu instid0(VALU_DEP_1)
	v_add_co_ci_u32_e64 v19, null, s2, 0, s0
	v_add_nc_u32_e32 v92, 0x3800, v8
	v_or_b32_e32 v93, 0x4000, v8
	v_add_nc_u32_e32 v94, 0x4800, v8
	v_add_nc_u32_e32 v95, 0x5000, v8
	;; [unrolled: 1-line block ×3, first 2 shown]
	v_or_b32_e32 v97, 0x6000, v8
	v_add_nc_u32_e32 v98, 0x6800, v8
	v_add_nc_u32_e32 v99, 0x7000, v8
	;; [unrolled: 1-line block ×3, first 2 shown]
	s_add_i32 s3, s3, -1
	s_delay_alu instid0(SALU_CYCLE_1)
	s_cmp_eq_u32 s15, s3
	s_cselect_b32 s2, -1, 0
	s_waitcnt vmcnt(0)
	v_add_co_u32 v4, vcc_lo, v2, v4
	v_add_co_ci_u32_e32 v5, vcc_lo, v6, v5, vcc_lo
	v_add_co_u32 v42, vcc_lo, v9, v43
	v_add_co_ci_u32_e32 v43, vcc_lo, 0, v19, vcc_lo
	ds_store_b64 v8, v[4:5]
	s_waitcnt lgkmcnt(0)
	s_waitcnt_vscnt null, 0x0
	s_barrier
	buffer_gl0_inv
	ds_load_2addr_stride64_b64 v[4:7], v8 offset0:4 offset1:8
	ds_load_2addr_stride64_b64 v[11:14], v8 offset0:12 offset1:16
	;; [unrolled: 1-line block ×8, first 2 shown]
	v_or_b32_e32 v2, 0x2000, v8
	s_waitcnt lgkmcnt(7)
	v_lshrrev_b64 v[57:58], s48, v[4:5]
	v_lshrrev_b64 v[58:59], s48, v[6:7]
	s_waitcnt lgkmcnt(6)
	v_lshrrev_b64 v[59:60], s48, v[11:12]
	v_lshrrev_b64 v[60:61], s48, v[13:14]
	;; [unrolled: 3-line block ×8, first 2 shown]
	v_and_b32_e32 v9, s1, v57
	v_and_b32_e32 v57, s1, v58
	;; [unrolled: 1-line block ×16, first 2 shown]
	v_lshlrev_b32_e32 v9, 3, v9
	v_lshlrev_b32_e32 v101, 3, v57
	;; [unrolled: 1-line block ×16, first 2 shown]
	ds_load_b64 v[57:58], v9
	ds_load_b64 v[59:60], v101
	;; [unrolled: 1-line block ×16, first 2 shown]
	v_xor_b32_e32 v5, 0x7fffffff, v5
	v_xor_b32_e32 v4, -1, v4
	v_xor_b32_e32 v7, 0x7fffffff, v7
	v_xor_b32_e32 v6, -1, v6
	s_waitcnt lgkmcnt(15)
	v_lshlrev_b64 v[57:58], 3, v[57:58]
	s_waitcnt lgkmcnt(14)
	v_lshlrev_b64 v[59:60], 3, v[59:60]
	;; [unrolled: 2-line block ×6, first 2 shown]
	v_add_co_u32 v57, vcc_lo, s38, v57
	v_add_co_ci_u32_e32 v58, vcc_lo, s39, v58, vcc_lo
	v_add_co_u32 v59, vcc_lo, s38, v59
	v_add_co_ci_u32_e32 v60, vcc_lo, s39, v60, vcc_lo
	;; [unrolled: 2-line block ×4, first 2 shown]
	s_waitcnt lgkmcnt(9)
	v_lshlrev_b64 v[69:70], 3, v[69:70]
	v_add_co_u32 v65, vcc_lo, s38, v65
	v_add_co_ci_u32_e32 v66, vcc_lo, s39, v66, vcc_lo
	s_waitcnt lgkmcnt(8)
	v_lshlrev_b64 v[71:72], 3, v[71:72]
	v_add_co_u32 v67, vcc_lo, s38, v67
	v_add_co_ci_u32_e32 v68, vcc_lo, s39, v68, vcc_lo
	;; [unrolled: 4-line block ×10, first 2 shown]
	v_add_co_u32 v85, vcc_lo, s38, v85
	v_add_co_ci_u32_e32 v86, vcc_lo, s39, v86, vcc_lo
	v_add_co_u32 v87, vcc_lo, s38, v87
	v_add_co_ci_u32_e32 v88, vcc_lo, s39, v88, vcc_lo
	;; [unrolled: 2-line block ×16, first 2 shown]
	v_add_co_u32 v85, vcc_lo, v85, v99
	v_xor_b32_e32 v12, 0x7fffffff, v12
	v_xor_b32_e32 v11, -1, v11
	v_add_co_ci_u32_e32 v86, vcc_lo, 0, v86, vcc_lo
	v_xor_b32_e32 v14, 0x7fffffff, v14
	v_xor_b32_e32 v13, -1, v13
	v_add_co_u32 v87, vcc_lo, v87, v100
	v_xor_b32_e32 v16, 0x7fffffff, v16
	v_xor_b32_e32 v15, -1, v15
	v_xor_b32_e32 v18, 0x7fffffff, v18
	v_xor_b32_e32 v17, -1, v17
	;; [unrolled: 2-line block ×12, first 2 shown]
	v_add_co_ci_u32_e32 v88, vcc_lo, 0, v88, vcc_lo
	s_clause 0xf
	global_store_b64 v[57:58], v[4:5], off
	global_store_b64 v[59:60], v[6:7], off offset:2048
	global_store_b64 v[61:62], v[11:12], off
	global_store_b64 v[63:64], v[13:14], off
	global_store_b64 v[65:66], v[15:16], off
	global_store_b64 v[67:68], v[17:18], off
	global_store_b64 v[69:70], v[19:20], off
	global_store_b64 v[71:72], v[21:22], off
	global_store_b64 v[73:74], v[23:24], off
	global_store_b64 v[75:76], v[25:26], off
	global_store_b64 v[77:78], v[27:28], off
	global_store_b64 v[79:80], v[29:30], off
	global_store_b64 v[81:82], v[31:32], off
	global_store_b64 v[83:84], v[33:34], off
	global_store_b64 v[85:86], v[53:54], off
	global_store_b64 v[87:88], v[55:56], off
	s_clause 0xf
	global_load_u8 v5, v[42:43], off
	global_load_u8 v6, v[42:43], off offset:32
	global_load_u8 v7, v[42:43], off offset:64
	;; [unrolled: 1-line block ×15, first 2 shown]
	s_waitcnt vmcnt(0)
	s_waitcnt_vscnt null, 0x0
	s_barrier
	buffer_gl0_inv
	v_mov_b32_e32 v2, 0
	ds_store_b8 v0, v5 offset:2048
	ds_store_b8 v36, v6 offset:2048
	;; [unrolled: 1-line block ×16, first 2 shown]
	v_mov_b32_e32 v4, v2
	s_waitcnt lgkmcnt(0)
	s_barrier
	buffer_gl0_inv
	ds_load_b64 v[5:6], v9
	ds_load_b64 v[11:12], v101
	;; [unrolled: 1-line block ×4, first 2 shown]
	ds_load_u8 v0, v1 offset:2048
	ds_load_u8 v7, v1 offset:2304
	;; [unrolled: 1-line block ×8, first 2 shown]
	ds_load_b64 v[17:18], v104
	ds_load_b64 v[19:20], v105
	;; [unrolled: 1-line block ×8, first 2 shown]
	ds_load_u8 v46, v1 offset:4096
	ds_load_u8 v47, v1 offset:4352
	;; [unrolled: 1-line block ×8, first 2 shown]
	ds_load_b64 v[33:34], v112
	ds_load_b64 v[35:36], v113
	;; [unrolled: 1-line block ×4, first 2 shown]
	s_waitcnt lgkmcnt(31)
	v_add_co_u32 v5, vcc_lo, s42, v5
	v_add_co_ci_u32_e32 v6, vcc_lo, s43, v6, vcc_lo
	s_waitcnt lgkmcnt(30)
	v_add_co_u32 v11, vcc_lo, s42, v11
	v_add_co_ci_u32_e32 v12, vcc_lo, s43, v12, vcc_lo
	s_waitcnt lgkmcnt(29)
	v_add_co_u32 v13, vcc_lo, s42, v13
	v_add_co_ci_u32_e32 v14, vcc_lo, s43, v14, vcc_lo
	s_waitcnt lgkmcnt(28)
	v_add_co_u32 v15, vcc_lo, s42, v15
	v_add_co_ci_u32_e32 v16, vcc_lo, s43, v16, vcc_lo
	s_waitcnt lgkmcnt(19)
	v_add_co_u32 v17, vcc_lo, s42, v17
	v_add_co_ci_u32_e32 v18, vcc_lo, s43, v18, vcc_lo
	s_waitcnt lgkmcnt(18)
	v_add_co_u32 v19, vcc_lo, s42, v19
	v_add_co_ci_u32_e32 v20, vcc_lo, s43, v20, vcc_lo
	s_waitcnt lgkmcnt(17)
	v_add_co_u32 v21, vcc_lo, s42, v21
	v_add_co_ci_u32_e32 v22, vcc_lo, s43, v22, vcc_lo
	s_waitcnt lgkmcnt(16)
	v_add_co_u32 v23, vcc_lo, s42, v23
	v_add_co_ci_u32_e32 v24, vcc_lo, s43, v24, vcc_lo
	s_waitcnt lgkmcnt(15)
	v_add_co_u32 v25, vcc_lo, s42, v25
	v_add_co_ci_u32_e32 v26, vcc_lo, s43, v26, vcc_lo
	s_waitcnt lgkmcnt(14)
	v_add_co_u32 v27, vcc_lo, s42, v27
	v_add_co_ci_u32_e32 v28, vcc_lo, s43, v28, vcc_lo
	s_waitcnt lgkmcnt(13)
	v_add_co_u32 v29, vcc_lo, s42, v29
	v_add_co_ci_u32_e32 v30, vcc_lo, s43, v30, vcc_lo
	s_waitcnt lgkmcnt(12)
	v_add_co_u32 v31, vcc_lo, s42, v31
	v_add_co_ci_u32_e32 v32, vcc_lo, s43, v32, vcc_lo
	s_waitcnt lgkmcnt(3)
	v_add_co_u32 v33, vcc_lo, s42, v33
	v_add_co_ci_u32_e32 v34, vcc_lo, s43, v34, vcc_lo
	s_waitcnt lgkmcnt(2)
	v_add_co_u32 v35, vcc_lo, s42, v35
	v_add_co_ci_u32_e32 v36, vcc_lo, s43, v36, vcc_lo
	s_waitcnt lgkmcnt(1)
	v_add_co_u32 v37, vcc_lo, s42, v37
	v_add_co_ci_u32_e32 v38, vcc_lo, s43, v38, vcc_lo
	s_waitcnt lgkmcnt(0)
	v_add_co_u32 v39, vcc_lo, s42, v39
	v_add_co_ci_u32_e32 v40, vcc_lo, s43, v40, vcc_lo
	v_add_co_u32 v5, vcc_lo, v5, v1
	v_add_co_ci_u32_e32 v6, vcc_lo, 0, v6, vcc_lo
	v_add_co_u32 v11, vcc_lo, v11, v1
	v_add_co_ci_u32_e32 v12, vcc_lo, 0, v12, vcc_lo
	;; [unrolled: 2-line block ×16, first 2 shown]
	s_clause 0xf
	global_store_b8 v[5:6], v0, off
	global_store_b8 v[11:12], v7, off offset:256
	global_store_b8 v[13:14], v9, off offset:512
	;; [unrolled: 1-line block ×15, first 2 shown]
.LBB15_214:
	s_and_b32 vcc_lo, exec_lo, s2
	s_cbranch_vccnz .LBB15_216
; %bb.215:
	s_nop 0
	s_sendmsg sendmsg(MSG_DEALLOC_VGPRS)
	s_endpgm
.LBB15_216:
	ds_load_b64 v[5:6], v8
	v_lshlrev_b64 v[0:1], 3, v[1:2]
	v_add_co_u32 v2, vcc_lo, v3, v10
	v_add_co_ci_u32_e32 v3, vcc_lo, 0, v4, vcc_lo
	s_delay_alu instid0(VALU_DEP_3) | instskip(NEXT) | instid1(VALU_DEP_4)
	v_add_co_u32 v0, vcc_lo, s46, v0
	v_add_co_ci_u32_e32 v1, vcc_lo, s47, v1, vcc_lo
	s_waitcnt lgkmcnt(0)
	v_add_co_u32 v2, vcc_lo, v2, v5
	v_add_co_ci_u32_e32 v3, vcc_lo, v3, v6, vcc_lo
	global_store_b64 v[0:1], v[2:3], off
	s_nop 0
	s_sendmsg sendmsg(MSG_DEALLOC_VGPRS)
	s_endpgm
.LBB15_217:
	global_load_u8 v7, v[5:6], off
	s_or_b32 exec_lo, exec_lo, s35
                                        ; implicit-def: $vgpr9
	s_and_saveexec_b32 s35, s2
	s_cbranch_execz .LBB15_115
.LBB15_218:
	global_load_u8 v9, v[5:6], off offset:32
	s_or_b32 exec_lo, exec_lo, s35
                                        ; implicit-def: $vgpr11
	s_and_saveexec_b32 s2, s3
	s_cbranch_execz .LBB15_116
.LBB15_219:
	global_load_u8 v11, v[5:6], off offset:64
	s_or_b32 exec_lo, exec_lo, s2
                                        ; implicit-def: $vgpr12
	s_and_saveexec_b32 s2, s4
	s_cbranch_execz .LBB15_117
.LBB15_220:
	global_load_u8 v12, v[5:6], off offset:96
	s_or_b32 exec_lo, exec_lo, s2
                                        ; implicit-def: $vgpr13
	s_and_saveexec_b32 s2, s5
	s_cbranch_execz .LBB15_118
.LBB15_221:
	global_load_u8 v13, v[5:6], off offset:128
	s_or_b32 exec_lo, exec_lo, s2
                                        ; implicit-def: $vgpr14
	s_and_saveexec_b32 s2, s6
	s_cbranch_execz .LBB15_119
.LBB15_222:
	global_load_u8 v14, v[5:6], off offset:160
	s_or_b32 exec_lo, exec_lo, s2
                                        ; implicit-def: $vgpr15
	s_and_saveexec_b32 s2, s7
	s_cbranch_execz .LBB15_120
.LBB15_223:
	global_load_u8 v15, v[5:6], off offset:192
	s_or_b32 exec_lo, exec_lo, s2
                                        ; implicit-def: $vgpr16
	s_and_saveexec_b32 s2, s8
	s_cbranch_execz .LBB15_121
.LBB15_224:
	global_load_u8 v16, v[5:6], off offset:224
	s_or_b32 exec_lo, exec_lo, s2
                                        ; implicit-def: $vgpr17
	s_and_saveexec_b32 s2, s9
	s_cbranch_execz .LBB15_122
.LBB15_225:
	global_load_u8 v17, v[5:6], off offset:256
	s_or_b32 exec_lo, exec_lo, s2
                                        ; implicit-def: $vgpr18
	s_and_saveexec_b32 s2, s10
	s_cbranch_execz .LBB15_123
.LBB15_226:
	global_load_u8 v18, v[5:6], off offset:288
	s_or_b32 exec_lo, exec_lo, s2
                                        ; implicit-def: $vgpr19
	s_and_saveexec_b32 s2, s11
	s_cbranch_execz .LBB15_124
.LBB15_227:
	global_load_u8 v19, v[5:6], off offset:320
	s_or_b32 exec_lo, exec_lo, s2
                                        ; implicit-def: $vgpr22
	s_and_saveexec_b32 s2, s12
	s_cbranch_execz .LBB15_125
.LBB15_228:
	global_load_u8 v22, v[5:6], off offset:352
	s_or_b32 exec_lo, exec_lo, s2
                                        ; implicit-def: $vgpr25
	s_and_saveexec_b32 s2, s13
	s_cbranch_execz .LBB15_126
.LBB15_229:
	global_load_u8 v25, v[5:6], off offset:384
	s_or_b32 exec_lo, exec_lo, s2
                                        ; implicit-def: $vgpr29
	s_and_saveexec_b32 s2, s14
	s_cbranch_execz .LBB15_127
.LBB15_230:
	global_load_u8 v29, v[5:6], off offset:416
	s_or_b32 exec_lo, exec_lo, s2
                                        ; implicit-def: $vgpr33
	s_and_saveexec_b32 s2, s16
	s_cbranch_execz .LBB15_128
.LBB15_231:
	global_load_u8 v33, v[5:6], off offset:448
	s_or_b32 exec_lo, exec_lo, s2
                                        ; implicit-def: $vgpr54
	s_and_saveexec_b32 s2, s17
	s_cbranch_execz .LBB15_129
.LBB15_232:
	global_load_u8 v54, v[5:6], off offset:480
	s_or_b32 exec_lo, exec_lo, s2
                                        ; implicit-def: $vgpr55
	s_and_saveexec_b32 s2, s18
	s_cbranch_execz .LBB15_130
.LBB15_233:
	ds_load_b64 v[5:6], v8 offset:2048
	s_waitcnt lgkmcnt(0)
	v_lshrrev_b64 v[5:6], s48, v[5:6]
	s_delay_alu instid0(VALU_DEP_1)
	v_and_b32_e32 v55, s55, v5
	s_or_b32 exec_lo, exec_lo, s2
                                        ; implicit-def: $vgpr43
	s_and_saveexec_b32 s2, s19
	s_cbranch_execz .LBB15_131
.LBB15_234:
	v_lshlrev_b32_e32 v5, 3, v1
	ds_load_b64 v[5:6], v5 offset:4096
	s_waitcnt lgkmcnt(0)
	v_lshrrev_b64 v[5:6], s48, v[5:6]
	s_delay_alu instid0(VALU_DEP_1)
	v_and_b32_e32 v43, s55, v5
	s_or_b32 exec_lo, exec_lo, s2
                                        ; implicit-def: $vgpr35
	s_and_saveexec_b32 s2, s20
	s_cbranch_execz .LBB15_132
.LBB15_235:
	v_lshlrev_b32_e32 v5, 3, v1
	ds_load_b64 v[5:6], v5 offset:6144
	s_waitcnt lgkmcnt(0)
	v_lshrrev_b64 v[5:6], s48, v[5:6]
	s_delay_alu instid0(VALU_DEP_1)
	v_and_b32_e32 v35, s55, v5
	s_or_b32 exec_lo, exec_lo, s2
                                        ; implicit-def: $vgpr34
	s_and_saveexec_b32 s2, s21
	s_cbranch_execz .LBB15_133
.LBB15_236:
	v_lshlrev_b32_e32 v5, 3, v1
	ds_load_b64 v[5:6], v5 offset:8192
	s_waitcnt lgkmcnt(0)
	v_lshrrev_b64 v[5:6], s48, v[5:6]
	s_delay_alu instid0(VALU_DEP_1)
	v_and_b32_e32 v34, s55, v5
	s_or_b32 exec_lo, exec_lo, s2
                                        ; implicit-def: $vgpr32
	s_and_saveexec_b32 s2, s22
	s_cbranch_execz .LBB15_134
.LBB15_237:
	v_lshlrev_b32_e32 v5, 3, v1
	ds_load_b64 v[5:6], v5 offset:10240
	s_waitcnt lgkmcnt(0)
	v_lshrrev_b64 v[5:6], s48, v[5:6]
	s_delay_alu instid0(VALU_DEP_1)
	v_and_b32_e32 v32, s55, v5
	s_or_b32 exec_lo, exec_lo, s2
                                        ; implicit-def: $vgpr31
	s_and_saveexec_b32 s2, s23
	s_cbranch_execz .LBB15_135
.LBB15_238:
	v_lshlrev_b32_e32 v5, 3, v1
	ds_load_b64 v[5:6], v5 offset:12288
	s_waitcnt lgkmcnt(0)
	v_lshrrev_b64 v[5:6], s48, v[5:6]
	s_delay_alu instid0(VALU_DEP_1)
	v_and_b32_e32 v31, s55, v5
	s_or_b32 exec_lo, exec_lo, s2
                                        ; implicit-def: $vgpr30
	s_and_saveexec_b32 s2, s24
	s_cbranch_execz .LBB15_136
.LBB15_239:
	v_lshlrev_b32_e32 v5, 3, v1
	ds_load_b64 v[5:6], v5 offset:14336
	s_waitcnt lgkmcnt(0)
	v_lshrrev_b64 v[5:6], s48, v[5:6]
	s_delay_alu instid0(VALU_DEP_1)
	v_and_b32_e32 v30, s55, v5
	s_or_b32 exec_lo, exec_lo, s2
                                        ; implicit-def: $vgpr28
	s_and_saveexec_b32 s2, s25
	s_cbranch_execz .LBB15_137
.LBB15_240:
	v_lshlrev_b32_e32 v5, 3, v1
	ds_load_b64 v[5:6], v5 offset:16384
	s_waitcnt lgkmcnt(0)
	v_lshrrev_b64 v[5:6], s48, v[5:6]
	s_delay_alu instid0(VALU_DEP_1)
	v_and_b32_e32 v28, s55, v5
	s_or_b32 exec_lo, exec_lo, s2
                                        ; implicit-def: $vgpr27
	s_and_saveexec_b32 s2, s26
	s_cbranch_execz .LBB15_138
.LBB15_241:
	v_lshlrev_b32_e32 v5, 3, v1
	ds_load_b64 v[5:6], v5 offset:18432
	s_waitcnt lgkmcnt(0)
	v_lshrrev_b64 v[5:6], s48, v[5:6]
	s_delay_alu instid0(VALU_DEP_1)
	v_and_b32_e32 v27, s55, v5
	s_or_b32 exec_lo, exec_lo, s2
                                        ; implicit-def: $vgpr26
	s_and_saveexec_b32 s2, s27
	s_cbranch_execz .LBB15_139
.LBB15_242:
	v_lshlrev_b32_e32 v5, 3, v1
	ds_load_b64 v[5:6], v5 offset:20480
	s_waitcnt lgkmcnt(0)
	v_lshrrev_b64 v[5:6], s48, v[5:6]
	s_delay_alu instid0(VALU_DEP_1)
	v_and_b32_e32 v26, s55, v5
	s_or_b32 exec_lo, exec_lo, s2
                                        ; implicit-def: $vgpr24
	s_and_saveexec_b32 s2, s28
	s_cbranch_execz .LBB15_140
.LBB15_243:
	v_lshlrev_b32_e32 v5, 3, v1
	ds_load_b64 v[5:6], v5 offset:22528
	s_waitcnt lgkmcnt(0)
	v_lshrrev_b64 v[5:6], s48, v[5:6]
	s_delay_alu instid0(VALU_DEP_1)
	v_and_b32_e32 v24, s55, v5
	s_or_b32 exec_lo, exec_lo, s2
                                        ; implicit-def: $vgpr23
	s_and_saveexec_b32 s2, s29
	s_cbranch_execz .LBB15_141
.LBB15_244:
	v_lshlrev_b32_e32 v5, 3, v1
	ds_load_b64 v[5:6], v5 offset:24576
	s_waitcnt lgkmcnt(0)
	v_lshrrev_b64 v[5:6], s48, v[5:6]
	s_delay_alu instid0(VALU_DEP_1)
	v_and_b32_e32 v23, s55, v5
	s_or_b32 exec_lo, exec_lo, s2
                                        ; implicit-def: $vgpr21
	s_and_saveexec_b32 s2, s30
	s_cbranch_execz .LBB15_142
.LBB15_245:
	v_lshlrev_b32_e32 v5, 3, v1
	ds_load_b64 v[5:6], v5 offset:26624
	s_waitcnt lgkmcnt(0)
	v_lshrrev_b64 v[5:6], s48, v[5:6]
	s_delay_alu instid0(VALU_DEP_1)
	v_and_b32_e32 v21, s55, v5
	s_or_b32 exec_lo, exec_lo, s2
                                        ; implicit-def: $vgpr20
	s_and_saveexec_b32 s2, s31
	s_cbranch_execz .LBB15_143
.LBB15_246:
	v_lshlrev_b32_e32 v5, 3, v1
	ds_load_b64 v[5:6], v5 offset:28672
	s_waitcnt lgkmcnt(0)
	v_lshrrev_b64 v[5:6], s48, v[5:6]
	s_delay_alu instid0(VALU_DEP_1)
	v_and_b32_e32 v20, s55, v5
	s_or_b32 exec_lo, exec_lo, s2
                                        ; implicit-def: $vgpr6
	s_and_saveexec_b32 s2, s33
	s_cbranch_execz .LBB15_144
.LBB15_247:
	v_lshlrev_b32_e32 v5, 3, v1
	ds_load_b64 v[5:6], v5 offset:30720
	s_waitcnt lgkmcnt(0)
	v_lshrrev_b64 v[5:6], s48, v[5:6]
	s_delay_alu instid0(VALU_DEP_1)
	v_and_b32_e32 v6, s55, v5
	s_or_b32 exec_lo, exec_lo, s2
                                        ; implicit-def: $vgpr5
	s_and_saveexec_b32 s2, s34
	s_cbranch_execnz .LBB15_145
	s_branch .LBB15_146
.LBB15_248:
	v_lshlrev_b32_e32 v7, 3, v55
	ds_load_b64 v[11:12], v7
	ds_load_u8 v7, v1 offset:2048
	s_waitcnt lgkmcnt(1)
	v_add_co_u32 v9, vcc_lo, s42, v11
	v_add_co_ci_u32_e32 v12, vcc_lo, s43, v12, vcc_lo
	s_delay_alu instid0(VALU_DEP_2) | instskip(NEXT) | instid1(VALU_DEP_2)
	v_add_co_u32 v11, vcc_lo, v9, v1
	v_add_co_ci_u32_e32 v12, vcc_lo, 0, v12, vcc_lo
	s_waitcnt lgkmcnt(0)
	global_store_b8 v[11:12], v7, off
	s_or_b32 exec_lo, exec_lo, s2
	s_and_saveexec_b32 s2, s19
	s_cbranch_execz .LBB15_148
.LBB15_249:
	v_lshlrev_b32_e32 v7, 3, v43
	ds_load_b64 v[11:12], v7
	ds_load_u8 v7, v1 offset:2304
	s_waitcnt lgkmcnt(1)
	v_add_co_u32 v9, vcc_lo, s42, v11
	v_add_co_ci_u32_e32 v12, vcc_lo, s43, v12, vcc_lo
	s_delay_alu instid0(VALU_DEP_2) | instskip(NEXT) | instid1(VALU_DEP_2)
	v_add_co_u32 v11, vcc_lo, v9, v1
	v_add_co_ci_u32_e32 v12, vcc_lo, 0, v12, vcc_lo
	s_waitcnt lgkmcnt(0)
	global_store_b8 v[11:12], v7, off offset:256
	s_or_b32 exec_lo, exec_lo, s2
	s_and_saveexec_b32 s2, s20
	s_cbranch_execz .LBB15_149
.LBB15_250:
	v_lshlrev_b32_e32 v7, 3, v35
	ds_load_b64 v[11:12], v7
	ds_load_u8 v7, v1 offset:2560
	s_waitcnt lgkmcnt(1)
	v_add_co_u32 v9, vcc_lo, s42, v11
	v_add_co_ci_u32_e32 v12, vcc_lo, s43, v12, vcc_lo
	s_delay_alu instid0(VALU_DEP_2) | instskip(NEXT) | instid1(VALU_DEP_2)
	v_add_co_u32 v11, vcc_lo, v9, v1
	v_add_co_ci_u32_e32 v12, vcc_lo, 0, v12, vcc_lo
	s_waitcnt lgkmcnt(0)
	global_store_b8 v[11:12], v7, off offset:512
	s_or_b32 exec_lo, exec_lo, s2
	s_and_saveexec_b32 s2, s21
	s_cbranch_execz .LBB15_150
.LBB15_251:
	v_lshlrev_b32_e32 v7, 3, v34
	ds_load_b64 v[11:12], v7
	ds_load_u8 v7, v1 offset:2816
	s_waitcnt lgkmcnt(1)
	v_add_co_u32 v9, vcc_lo, s42, v11
	v_add_co_ci_u32_e32 v12, vcc_lo, s43, v12, vcc_lo
	s_delay_alu instid0(VALU_DEP_2) | instskip(NEXT) | instid1(VALU_DEP_2)
	v_add_co_u32 v11, vcc_lo, v9, v1
	v_add_co_ci_u32_e32 v12, vcc_lo, 0, v12, vcc_lo
	s_waitcnt lgkmcnt(0)
	global_store_b8 v[11:12], v7, off offset:768
	s_or_b32 exec_lo, exec_lo, s2
	s_and_saveexec_b32 s2, s22
	s_cbranch_execz .LBB15_151
.LBB15_252:
	v_lshlrev_b32_e32 v7, 3, v32
	ds_load_b64 v[11:12], v7
	ds_load_u8 v7, v1 offset:3072
	s_waitcnt lgkmcnt(1)
	v_add_co_u32 v9, vcc_lo, s42, v11
	v_add_co_ci_u32_e32 v12, vcc_lo, s43, v12, vcc_lo
	s_delay_alu instid0(VALU_DEP_2) | instskip(NEXT) | instid1(VALU_DEP_2)
	v_add_co_u32 v11, vcc_lo, v9, v1
	v_add_co_ci_u32_e32 v12, vcc_lo, 0, v12, vcc_lo
	s_waitcnt lgkmcnt(0)
	global_store_b8 v[11:12], v7, off offset:1024
	s_or_b32 exec_lo, exec_lo, s2
	s_and_saveexec_b32 s2, s23
	s_cbranch_execz .LBB15_152
.LBB15_253:
	v_lshlrev_b32_e32 v7, 3, v31
	ds_load_b64 v[11:12], v7
	ds_load_u8 v7, v1 offset:3328
	s_waitcnt lgkmcnt(1)
	v_add_co_u32 v9, vcc_lo, s42, v11
	v_add_co_ci_u32_e32 v12, vcc_lo, s43, v12, vcc_lo
	s_delay_alu instid0(VALU_DEP_2) | instskip(NEXT) | instid1(VALU_DEP_2)
	v_add_co_u32 v11, vcc_lo, v9, v1
	v_add_co_ci_u32_e32 v12, vcc_lo, 0, v12, vcc_lo
	s_waitcnt lgkmcnt(0)
	global_store_b8 v[11:12], v7, off offset:1280
	s_or_b32 exec_lo, exec_lo, s2
	s_and_saveexec_b32 s2, s24
	s_cbranch_execz .LBB15_153
.LBB15_254:
	v_lshlrev_b32_e32 v7, 3, v30
	ds_load_b64 v[11:12], v7
	ds_load_u8 v7, v1 offset:3584
	s_waitcnt lgkmcnt(1)
	v_add_co_u32 v9, vcc_lo, s42, v11
	v_add_co_ci_u32_e32 v12, vcc_lo, s43, v12, vcc_lo
	s_delay_alu instid0(VALU_DEP_2) | instskip(NEXT) | instid1(VALU_DEP_2)
	v_add_co_u32 v11, vcc_lo, v9, v1
	v_add_co_ci_u32_e32 v12, vcc_lo, 0, v12, vcc_lo
	s_waitcnt lgkmcnt(0)
	global_store_b8 v[11:12], v7, off offset:1536
	s_or_b32 exec_lo, exec_lo, s2
	s_and_saveexec_b32 s2, s25
	s_cbranch_execz .LBB15_154
.LBB15_255:
	v_lshlrev_b32_e32 v7, 3, v28
	ds_load_b64 v[11:12], v7
	ds_load_u8 v7, v1 offset:3840
	s_waitcnt lgkmcnt(1)
	v_add_co_u32 v9, vcc_lo, s42, v11
	v_add_co_ci_u32_e32 v12, vcc_lo, s43, v12, vcc_lo
	s_delay_alu instid0(VALU_DEP_2) | instskip(NEXT) | instid1(VALU_DEP_2)
	v_add_co_u32 v11, vcc_lo, v9, v1
	v_add_co_ci_u32_e32 v12, vcc_lo, 0, v12, vcc_lo
	s_waitcnt lgkmcnt(0)
	global_store_b8 v[11:12], v7, off offset:1792
	s_or_b32 exec_lo, exec_lo, s2
	s_and_saveexec_b32 s2, s26
	s_cbranch_execz .LBB15_155
.LBB15_256:
	v_lshlrev_b32_e32 v7, 3, v27
	ds_load_b64 v[11:12], v7
	ds_load_u8 v7, v1 offset:4096
	s_waitcnt lgkmcnt(1)
	v_add_co_u32 v9, vcc_lo, s42, v11
	v_add_co_ci_u32_e32 v12, vcc_lo, s43, v12, vcc_lo
	s_delay_alu instid0(VALU_DEP_2) | instskip(NEXT) | instid1(VALU_DEP_2)
	v_add_co_u32 v11, vcc_lo, v9, v1
	v_add_co_ci_u32_e32 v12, vcc_lo, 0, v12, vcc_lo
	s_waitcnt lgkmcnt(0)
	global_store_b8 v[11:12], v7, off offset:2048
	s_or_b32 exec_lo, exec_lo, s2
	s_and_saveexec_b32 s2, s27
	s_cbranch_execz .LBB15_156
.LBB15_257:
	v_lshlrev_b32_e32 v7, 3, v26
	ds_load_b64 v[11:12], v7
	ds_load_u8 v7, v1 offset:4352
	s_waitcnt lgkmcnt(1)
	v_add_co_u32 v9, vcc_lo, s42, v11
	v_add_co_ci_u32_e32 v12, vcc_lo, s43, v12, vcc_lo
	s_delay_alu instid0(VALU_DEP_2) | instskip(NEXT) | instid1(VALU_DEP_2)
	v_add_co_u32 v11, vcc_lo, v9, v1
	v_add_co_ci_u32_e32 v12, vcc_lo, 0, v12, vcc_lo
	s_waitcnt lgkmcnt(0)
	global_store_b8 v[11:12], v7, off offset:2304
	s_or_b32 exec_lo, exec_lo, s2
	s_and_saveexec_b32 s2, s28
	s_cbranch_execz .LBB15_157
.LBB15_258:
	v_lshlrev_b32_e32 v7, 3, v24
	ds_load_b64 v[11:12], v7
	ds_load_u8 v7, v1 offset:4608
	s_waitcnt lgkmcnt(1)
	v_add_co_u32 v9, vcc_lo, s42, v11
	v_add_co_ci_u32_e32 v12, vcc_lo, s43, v12, vcc_lo
	s_delay_alu instid0(VALU_DEP_2) | instskip(NEXT) | instid1(VALU_DEP_2)
	v_add_co_u32 v11, vcc_lo, v9, v1
	v_add_co_ci_u32_e32 v12, vcc_lo, 0, v12, vcc_lo
	s_waitcnt lgkmcnt(0)
	global_store_b8 v[11:12], v7, off offset:2560
	s_or_b32 exec_lo, exec_lo, s2
	s_and_saveexec_b32 s2, s29
	s_cbranch_execz .LBB15_158
.LBB15_259:
	v_lshlrev_b32_e32 v7, 3, v23
	ds_load_b64 v[11:12], v7
	ds_load_u8 v7, v1 offset:4864
	s_waitcnt lgkmcnt(1)
	v_add_co_u32 v9, vcc_lo, s42, v11
	v_add_co_ci_u32_e32 v12, vcc_lo, s43, v12, vcc_lo
	s_delay_alu instid0(VALU_DEP_2) | instskip(NEXT) | instid1(VALU_DEP_2)
	v_add_co_u32 v11, vcc_lo, v9, v1
	v_add_co_ci_u32_e32 v12, vcc_lo, 0, v12, vcc_lo
	s_waitcnt lgkmcnt(0)
	global_store_b8 v[11:12], v7, off offset:2816
	s_or_b32 exec_lo, exec_lo, s2
	s_and_saveexec_b32 s2, s30
	s_cbranch_execz .LBB15_159
.LBB15_260:
	v_lshlrev_b32_e32 v7, 3, v21
	ds_load_b64 v[11:12], v7
	ds_load_u8 v7, v1 offset:5120
	s_waitcnt lgkmcnt(1)
	v_add_co_u32 v9, vcc_lo, s42, v11
	v_add_co_ci_u32_e32 v12, vcc_lo, s43, v12, vcc_lo
	s_delay_alu instid0(VALU_DEP_2) | instskip(NEXT) | instid1(VALU_DEP_2)
	v_add_co_u32 v11, vcc_lo, v9, v1
	v_add_co_ci_u32_e32 v12, vcc_lo, 0, v12, vcc_lo
	s_waitcnt lgkmcnt(0)
	global_store_b8 v[11:12], v7, off offset:3072
	s_or_b32 exec_lo, exec_lo, s2
	s_and_saveexec_b32 s2, s31
	s_cbranch_execz .LBB15_160
.LBB15_261:
	v_lshlrev_b32_e32 v7, 3, v20
	ds_load_b64 v[11:12], v7
	ds_load_u8 v7, v1 offset:5376
	s_waitcnt lgkmcnt(1)
	v_add_co_u32 v9, vcc_lo, s42, v11
	v_add_co_ci_u32_e32 v12, vcc_lo, s43, v12, vcc_lo
	s_delay_alu instid0(VALU_DEP_2) | instskip(NEXT) | instid1(VALU_DEP_2)
	v_add_co_u32 v11, vcc_lo, v9, v1
	v_add_co_ci_u32_e32 v12, vcc_lo, 0, v12, vcc_lo
	s_waitcnt lgkmcnt(0)
	global_store_b8 v[11:12], v7, off offset:3328
	s_or_b32 exec_lo, exec_lo, s2
	s_and_saveexec_b32 s2, s33
	s_cbranch_execz .LBB15_161
.LBB15_262:
	v_lshlrev_b32_e32 v6, 3, v6
	ds_load_b64 v[6:7], v6
	ds_load_u8 v9, v1 offset:5632
	s_waitcnt lgkmcnt(1)
	v_add_co_u32 v6, vcc_lo, s42, v6
	v_add_co_ci_u32_e32 v7, vcc_lo, s43, v7, vcc_lo
	s_delay_alu instid0(VALU_DEP_2) | instskip(NEXT) | instid1(VALU_DEP_2)
	v_add_co_u32 v6, vcc_lo, v6, v1
	v_add_co_ci_u32_e32 v7, vcc_lo, 0, v7, vcc_lo
	s_waitcnt lgkmcnt(0)
	global_store_b8 v[6:7], v9, off offset:3584
	s_or_b32 exec_lo, exec_lo, s2
	s_and_saveexec_b32 s2, s34
	s_cbranch_execnz .LBB15_162
	s_branch .LBB15_163
	.section	.rodata,"a",@progbits
	.p2align	6, 0x0
	.amdhsa_kernel _ZN7rocprim17ROCPRIM_304000_NS6detail25onesweep_iteration_kernelINS1_34wrapped_radix_sort_onesweep_configINS0_14default_configElN2at4cuda3cub6detail10OpaqueTypeILi1EEEEELb1EPlSC_PSA_SD_mNS0_19identity_decomposerEEEvT1_T2_T3_T4_jPT5_SK_PNS1_23onesweep_lookback_stateET6_jjj
		.amdhsa_group_segment_fixed_size 34816
		.amdhsa_private_segment_fixed_size 0
		.amdhsa_kernarg_size 336
		.amdhsa_user_sgpr_count 15
		.amdhsa_user_sgpr_dispatch_ptr 0
		.amdhsa_user_sgpr_queue_ptr 0
		.amdhsa_user_sgpr_kernarg_segment_ptr 1
		.amdhsa_user_sgpr_dispatch_id 0
		.amdhsa_user_sgpr_private_segment_size 0
		.amdhsa_wavefront_size32 1
		.amdhsa_uses_dynamic_stack 0
		.amdhsa_enable_private_segment 0
		.amdhsa_system_sgpr_workgroup_id_x 1
		.amdhsa_system_sgpr_workgroup_id_y 0
		.amdhsa_system_sgpr_workgroup_id_z 0
		.amdhsa_system_sgpr_workgroup_info 0
		.amdhsa_system_vgpr_workitem_id 2
		.amdhsa_next_free_vgpr 116
		.amdhsa_next_free_sgpr 57
		.amdhsa_reserve_vcc 1
		.amdhsa_float_round_mode_32 0
		.amdhsa_float_round_mode_16_64 0
		.amdhsa_float_denorm_mode_32 3
		.amdhsa_float_denorm_mode_16_64 3
		.amdhsa_dx10_clamp 1
		.amdhsa_ieee_mode 1
		.amdhsa_fp16_overflow 0
		.amdhsa_workgroup_processor_mode 1
		.amdhsa_memory_ordered 1
		.amdhsa_forward_progress 0
		.amdhsa_shared_vgpr_count 0
		.amdhsa_exception_fp_ieee_invalid_op 0
		.amdhsa_exception_fp_denorm_src 0
		.amdhsa_exception_fp_ieee_div_zero 0
		.amdhsa_exception_fp_ieee_overflow 0
		.amdhsa_exception_fp_ieee_underflow 0
		.amdhsa_exception_fp_ieee_inexact 0
		.amdhsa_exception_int_div_zero 0
	.end_amdhsa_kernel
	.section	.text._ZN7rocprim17ROCPRIM_304000_NS6detail25onesweep_iteration_kernelINS1_34wrapped_radix_sort_onesweep_configINS0_14default_configElN2at4cuda3cub6detail10OpaqueTypeILi1EEEEELb1EPlSC_PSA_SD_mNS0_19identity_decomposerEEEvT1_T2_T3_T4_jPT5_SK_PNS1_23onesweep_lookback_stateET6_jjj,"axG",@progbits,_ZN7rocprim17ROCPRIM_304000_NS6detail25onesweep_iteration_kernelINS1_34wrapped_radix_sort_onesweep_configINS0_14default_configElN2at4cuda3cub6detail10OpaqueTypeILi1EEEEELb1EPlSC_PSA_SD_mNS0_19identity_decomposerEEEvT1_T2_T3_T4_jPT5_SK_PNS1_23onesweep_lookback_stateET6_jjj,comdat
.Lfunc_end15:
	.size	_ZN7rocprim17ROCPRIM_304000_NS6detail25onesweep_iteration_kernelINS1_34wrapped_radix_sort_onesweep_configINS0_14default_configElN2at4cuda3cub6detail10OpaqueTypeILi1EEEEELb1EPlSC_PSA_SD_mNS0_19identity_decomposerEEEvT1_T2_T3_T4_jPT5_SK_PNS1_23onesweep_lookback_stateET6_jjj, .Lfunc_end15-_ZN7rocprim17ROCPRIM_304000_NS6detail25onesweep_iteration_kernelINS1_34wrapped_radix_sort_onesweep_configINS0_14default_configElN2at4cuda3cub6detail10OpaqueTypeILi1EEEEELb1EPlSC_PSA_SD_mNS0_19identity_decomposerEEEvT1_T2_T3_T4_jPT5_SK_PNS1_23onesweep_lookback_stateET6_jjj
                                        ; -- End function
	.section	.AMDGPU.csdata,"",@progbits
; Kernel info:
; codeLenInByte = 24392
; NumSgprs: 59
; NumVgprs: 116
; ScratchSize: 0
; MemoryBound: 0
; FloatMode: 240
; IeeeMode: 1
; LDSByteSize: 34816 bytes/workgroup (compile time only)
; SGPRBlocks: 7
; VGPRBlocks: 14
; NumSGPRsForWavesPerEU: 59
; NumVGPRsForWavesPerEU: 116
; Occupancy: 6
; WaveLimiterHint : 1
; COMPUTE_PGM_RSRC2:SCRATCH_EN: 0
; COMPUTE_PGM_RSRC2:USER_SGPR: 15
; COMPUTE_PGM_RSRC2:TRAP_HANDLER: 0
; COMPUTE_PGM_RSRC2:TGID_X_EN: 1
; COMPUTE_PGM_RSRC2:TGID_Y_EN: 0
; COMPUTE_PGM_RSRC2:TGID_Z_EN: 0
; COMPUTE_PGM_RSRC2:TIDIG_COMP_CNT: 2
	.section	.text._ZN7rocprim17ROCPRIM_304000_NS6detail28radix_sort_block_sort_kernelINS1_36wrapped_radix_sort_block_sort_configINS0_13kernel_configILj256ELj4ELj4294967295EEElN2at4cuda3cub6detail10OpaqueTypeILi1EEEEELb0EPKlPlPKSB_PSB_NS0_19identity_decomposerEEEvT1_T2_T3_T4_jT5_jj,"axG",@progbits,_ZN7rocprim17ROCPRIM_304000_NS6detail28radix_sort_block_sort_kernelINS1_36wrapped_radix_sort_block_sort_configINS0_13kernel_configILj256ELj4ELj4294967295EEElN2at4cuda3cub6detail10OpaqueTypeILi1EEEEELb0EPKlPlPKSB_PSB_NS0_19identity_decomposerEEEvT1_T2_T3_T4_jT5_jj,comdat
	.protected	_ZN7rocprim17ROCPRIM_304000_NS6detail28radix_sort_block_sort_kernelINS1_36wrapped_radix_sort_block_sort_configINS0_13kernel_configILj256ELj4ELj4294967295EEElN2at4cuda3cub6detail10OpaqueTypeILi1EEEEELb0EPKlPlPKSB_PSB_NS0_19identity_decomposerEEEvT1_T2_T3_T4_jT5_jj ; -- Begin function _ZN7rocprim17ROCPRIM_304000_NS6detail28radix_sort_block_sort_kernelINS1_36wrapped_radix_sort_block_sort_configINS0_13kernel_configILj256ELj4ELj4294967295EEElN2at4cuda3cub6detail10OpaqueTypeILi1EEEEELb0EPKlPlPKSB_PSB_NS0_19identity_decomposerEEEvT1_T2_T3_T4_jT5_jj
	.globl	_ZN7rocprim17ROCPRIM_304000_NS6detail28radix_sort_block_sort_kernelINS1_36wrapped_radix_sort_block_sort_configINS0_13kernel_configILj256ELj4ELj4294967295EEElN2at4cuda3cub6detail10OpaqueTypeILi1EEEEELb0EPKlPlPKSB_PSB_NS0_19identity_decomposerEEEvT1_T2_T3_T4_jT5_jj
	.p2align	8
	.type	_ZN7rocprim17ROCPRIM_304000_NS6detail28radix_sort_block_sort_kernelINS1_36wrapped_radix_sort_block_sort_configINS0_13kernel_configILj256ELj4ELj4294967295EEElN2at4cuda3cub6detail10OpaqueTypeILi1EEEEELb0EPKlPlPKSB_PSB_NS0_19identity_decomposerEEEvT1_T2_T3_T4_jT5_jj,@function
_ZN7rocprim17ROCPRIM_304000_NS6detail28radix_sort_block_sort_kernelINS1_36wrapped_radix_sort_block_sort_configINS0_13kernel_configILj256ELj4ELj4294967295EEElN2at4cuda3cub6detail10OpaqueTypeILi1EEEEELb0EPKlPlPKSB_PSB_NS0_19identity_decomposerEEEvT1_T2_T3_T4_jT5_jj: ; @_ZN7rocprim17ROCPRIM_304000_NS6detail28radix_sort_block_sort_kernelINS1_36wrapped_radix_sort_block_sort_configINS0_13kernel_configILj256ELj4ELj4294967295EEElN2at4cuda3cub6detail10OpaqueTypeILi1EEEEELb0EPKlPlPKSB_PSB_NS0_19identity_decomposerEEEvT1_T2_T3_T4_jT5_jj
; %bb.0:
	s_clause 0x1
	s_load_b32 s2, s[0:1], 0x20
	s_load_b256 s[16:23], s[0:1], 0x0
	v_and_b32_e32 v9, 0x3ff, v0
	v_mbcnt_lo_u32_b32 v12, -1, 0
	s_lshl_b32 s24, s15, 10
	s_mov_b32 s25, 0
	s_delay_alu instid0(VALU_DEP_2) | instskip(NEXT) | instid1(VALU_DEP_1)
	v_lshlrev_b32_e32 v1, 2, v9
	v_and_b32_e32 v14, 0x380, v1
	v_lshlrev_b32_e32 v1, 3, v12
	s_delay_alu instid0(VALU_DEP_2) | instskip(SKIP_3) | instid1(SALU_CYCLE_1)
	v_lshlrev_b32_e32 v2, 3, v14
	v_add_nc_u32_e32 v13, v12, v14
	s_waitcnt lgkmcnt(0)
	s_lshr_b32 s3, s2, 10
	s_cmp_lg_u32 s15, s3
	s_cselect_b32 s28, -1, 0
	s_lshl_b64 s[26:27], s[24:25], 3
	s_delay_alu instid0(SALU_CYCLE_1) | instskip(SKIP_2) | instid1(VALU_DEP_1)
	s_add_u32 s4, s16, s26
	s_addc_u32 s5, s17, s27
	v_add_co_u32 v1, s4, s4, v1
	v_add_co_ci_u32_e64 v3, null, s5, 0, s4
	s_cmp_eq_u32 s15, s3
	s_delay_alu instid0(VALU_DEP_2) | instskip(NEXT) | instid1(VALU_DEP_2)
	v_add_co_u32 v10, vcc_lo, v1, v2
	v_add_co_ci_u32_e32 v11, vcc_lo, 0, v3, vcc_lo
	s_mov_b32 s3, -1
	s_cbranch_scc1 .LBB16_2
; %bb.1:
	s_add_u32 s3, s20, s24
	s_addc_u32 s4, s21, 0
	v_add_co_u32 v1, s3, s3, v12
	s_delay_alu instid0(VALU_DEP_1) | instskip(SKIP_1) | instid1(VALU_DEP_3)
	v_add_co_ci_u32_e64 v2, null, s4, 0, s3
	v_add_nc_u32_e32 v25, v12, v14
	v_add_co_u32 v15, vcc_lo, v1, v14
	s_delay_alu instid0(VALU_DEP_3)
	v_add_co_ci_u32_e32 v16, vcc_lo, 0, v2, vcc_lo
	s_clause 0x3
	global_load_b64 v[1:2], v[10:11], off
	global_load_b64 v[3:4], v[10:11], off offset:256
	global_load_b64 v[5:6], v[10:11], off offset:512
	;; [unrolled: 1-line block ×3, first 2 shown]
	s_clause 0x3
	global_load_u8 v41, v[15:16], off
	global_load_u8 v42, v[15:16], off offset:32
	global_load_u8 v43, v[15:16], off offset:64
	;; [unrolled: 1-line block ×3, first 2 shown]
	v_add_nc_u32_e32 v22, 32, v25
	v_add_nc_u32_e32 v23, 64, v25
	;; [unrolled: 1-line block ×3, first 2 shown]
	s_mov_b32 s3, s25
	s_delay_alu instid0(SALU_CYCLE_1)
	s_and_not1_b32 vcc_lo, exec_lo, s3
	s_sub_i32 s16, s2, s24
	s_cbranch_vccz .LBB16_3
	s_branch .LBB16_17
.LBB16_2:
                                        ; implicit-def: $vgpr1_vgpr2_vgpr3_vgpr4_vgpr5_vgpr6_vgpr7_vgpr8
                                        ; implicit-def: $vgpr41
                                        ; implicit-def: $vgpr42
                                        ; implicit-def: $vgpr43
                                        ; implicit-def: $vgpr44
                                        ; implicit-def: $vgpr25
                                        ; implicit-def: $vgpr22
                                        ; implicit-def: $vgpr23
                                        ; implicit-def: $vgpr24
	s_and_not1_b32 vcc_lo, exec_lo, s3
	s_sub_i32 s16, s2, s24
	s_cbranch_vccnz .LBB16_17
.LBB16_3:
	s_mov_b32 s4, -1
	s_brev_b32 s5, -2
	s_mov_b32 s6, s4
	s_mov_b32 s7, s5
	;; [unrolled: 1-line block ×6, first 2 shown]
	s_waitcnt vmcnt(4)
	v_dual_mov_b32 v1, s4 :: v_dual_mov_b32 v2, s5
	v_cmp_gt_u32_e32 vcc_lo, s16, v13
	v_dual_mov_b32 v3, s6 :: v_dual_mov_b32 v4, s7
	v_dual_mov_b32 v5, s8 :: v_dual_mov_b32 v6, s9
	;; [unrolled: 1-line block ×3, first 2 shown]
	s_and_saveexec_b32 s2, vcc_lo
	s_cbranch_execz .LBB16_5
; %bb.4:
	global_load_b64 v[1:2], v[10:11], off
	v_bfrev_b32_e32 v4, -2
	s_delay_alu instid0(VALU_DEP_1) | instskip(NEXT) | instid1(VALU_DEP_1)
	v_dual_mov_b32 v3, -1 :: v_dual_mov_b32 v6, v4
	v_dual_mov_b32 v5, v3 :: v_dual_mov_b32 v8, v4
	v_mov_b32_e32 v7, v3
.LBB16_5:
	s_or_b32 exec_lo, exec_lo, s2
	v_add_nc_u32_e32 v22, 32, v13
	s_delay_alu instid0(VALU_DEP_1) | instskip(NEXT) | instid1(VALU_DEP_1)
	v_cmp_gt_u32_e64 s2, s16, v22
	s_and_saveexec_b32 s3, s2
	s_cbranch_execz .LBB16_7
; %bb.6:
	global_load_b64 v[3:4], v[10:11], off offset:256
.LBB16_7:
	s_or_b32 exec_lo, exec_lo, s3
	v_add_nc_u32_e32 v23, 64, v13
	s_delay_alu instid0(VALU_DEP_1) | instskip(NEXT) | instid1(VALU_DEP_1)
	v_cmp_gt_u32_e64 s3, s16, v23
	s_and_saveexec_b32 s4, s3
	s_cbranch_execz .LBB16_9
; %bb.8:
	global_load_b64 v[5:6], v[10:11], off offset:512
.LBB16_9:
	s_or_b32 exec_lo, exec_lo, s4
	v_add_nc_u32_e32 v24, 0x60, v13
	s_delay_alu instid0(VALU_DEP_1) | instskip(NEXT) | instid1(VALU_DEP_1)
	v_cmp_gt_u32_e64 s4, s16, v24
	s_and_saveexec_b32 s5, s4
	s_cbranch_execz .LBB16_11
; %bb.10:
	global_load_b64 v[7:8], v[10:11], off offset:768
.LBB16_11:
	s_or_b32 exec_lo, exec_lo, s5
	s_add_u32 s5, s20, s24
	s_addc_u32 s6, s21, 0
	v_add_co_u32 v10, s5, s5, v12
	s_delay_alu instid0(VALU_DEP_1) | instskip(NEXT) | instid1(VALU_DEP_2)
	v_add_co_ci_u32_e64 v11, null, s6, 0, s5
                                        ; implicit-def: $vgpr41
	v_add_co_u32 v10, s5, v10, v14
	s_delay_alu instid0(VALU_DEP_1)
	v_add_co_ci_u32_e64 v11, s5, 0, v11, s5
	s_and_saveexec_b32 s5, vcc_lo
	s_cbranch_execnz .LBB16_54
; %bb.12:
	s_or_b32 exec_lo, exec_lo, s5
                                        ; implicit-def: $vgpr42
	s_and_saveexec_b32 s5, s2
	s_cbranch_execnz .LBB16_55
.LBB16_13:
	s_or_b32 exec_lo, exec_lo, s5
                                        ; implicit-def: $vgpr43
	s_and_saveexec_b32 s2, s3
	s_cbranch_execnz .LBB16_56
.LBB16_14:
	s_or_b32 exec_lo, exec_lo, s2
                                        ; implicit-def: $vgpr44
	s_and_saveexec_b32 s2, s4
	s_cbranch_execz .LBB16_16
.LBB16_15:
	global_load_u8 v44, v[10:11], off offset:96
.LBB16_16:
	s_or_b32 exec_lo, exec_lo, s2
	v_mov_b32_e32 v25, v13
.LBB16_17:
	s_clause 0x1
	s_load_b32 s4, s[0:1], 0x3c
	s_load_b64 s[14:15], s[0:1], 0x28
	s_mov_b32 s20, 0
	v_bfe_u32 v10, v0, 10, 10
	s_mov_b32 s30, s20
	s_mov_b32 s31, s20
	v_add_nc_u32_e32 v15, -1, v12
	v_bfe_u32 v0, v0, 20, 10
	v_lshrrev_b32_e32 v16, 3, v9
	s_mov_b32 s21, s20
	v_and_b32_e32 v13, 15, v12
	v_cmp_gt_i32_e32 vcc_lo, 0, v15
	v_and_b32_e32 v11, 0x3e0, v9
	v_lshlrev_b32_e32 v26, 5, v9
	v_and_b32_e32 v14, 16, v12
	v_and_b32_e32 v17, 7, v12
	;; [unrolled: 1-line block ×3, first 2 shown]
	v_min_u32_e32 v18, 0xe0, v11
	v_cmp_eq_u32_e64 s8, 0, v12
	s_waitcnt vmcnt(0)
	v_xor_b32_e32 v2, 0x80000000, v2
	s_waitcnt lgkmcnt(0)
	s_lshr_b32 s3, s4, 16
	s_and_b32 s4, s4, 0xffff
	v_mad_u32_u24 v0, v0, s3, v10
	v_xor_b32_e32 v4, 0x80000000, v4
	v_xor_b32_e32 v6, 0x80000000, v6
	;; [unrolled: 1-line block ×3, first 2 shown]
	v_cmp_gt_u32_e64 s0, 8, v9
	v_mad_u64_u32 v[10:11], null, v0, s4, v[9:10]
	v_cndmask_b32_e32 v0, v15, v12, vcc_lo
	v_or_b32_e32 v11, 31, v18
	v_cmp_lt_u32_e64 s1, 31, v9
	v_cmp_eq_u32_e64 s9, 0, v9
	v_cmp_eq_u32_e64 s10, 0, v17
	v_lshlrev_b32_e32 v28, 2, v0
	v_mul_i32_i24_e32 v0, 0xffffffe4, v9
	v_cmp_eq_u32_e64 s7, v11, v9
	v_lshrrev_b32_e32 v29, 5, v10
	v_mov_b32_e32 v10, s20
	v_cmp_eq_u32_e64 s2, 0, v13
	v_cmp_lt_u32_e64 s3, 1, v13
	v_cmp_lt_u32_e64 s4, 3, v13
	;; [unrolled: 1-line block ×3, first 2 shown]
	v_dual_mov_b32 v12, s30 :: v_dual_mov_b32 v13, s31
	v_cmp_eq_u32_e64 s6, 0, v14
	v_cmp_lt_u32_e64 s11, 1, v17
	v_cmp_lt_u32_e64 s12, 3, v17
	v_add_nc_u32_e32 v31, -4, v30
	v_lshlrev_b32_e32 v32, 3, v25
	v_lshlrev_b32_e32 v33, 3, v22
	;; [unrolled: 1-line block ×4, first 2 shown]
	v_mov_b32_e32 v11, s21
	v_add_nc_u32_e32 v27, 32, v26
	v_add_nc_u32_e32 v36, v26, v0
	s_add_i32 s17, s15, s14
	s_branch .LBB16_19
.LBB16_18:                              ;   in Loop: Header=BB16_19 Depth=1
	s_barrier
	buffer_gl0_inv
	ds_store_b64 v48, v[14:15]
	ds_store_b64 v49, v[20:21]
	;; [unrolled: 1-line block ×4, first 2 shown]
	s_waitcnt lgkmcnt(0)
	s_barrier
	buffer_gl0_inv
	ds_load_b64 v[1:2], v32
	ds_load_b64 v[3:4], v33
	ds_load_b64 v[5:6], v34
	ds_load_b64 v[7:8], v35
	s_waitcnt lgkmcnt(0)
	s_barrier
	buffer_gl0_inv
	ds_store_b8 v47, v40
	ds_store_b8 v50, v39
	;; [unrolled: 1-line block ×4, first 2 shown]
	s_waitcnt lgkmcnt(0)
	s_barrier
	buffer_gl0_inv
	ds_load_u8 v41, v25
	ds_load_u8 v42, v22
	;; [unrolled: 1-line block ×4, first 2 shown]
	s_add_i32 s15, s15, -8
	s_waitcnt lgkmcnt(0)
	s_barrier
	buffer_gl0_inv
	s_cbranch_execz .LBB16_35
.LBB16_19:                              ; =>This Inner Loop Header: Depth=1
	v_dual_mov_b32 v15, v2 :: v_dual_mov_b32 v14, v1
	s_min_u32 s13, s15, 8
	v_mov_b32_e32 v38, v43
	s_lshl_b32 s13, -1, s13
	ds_store_2addr_b64 v26, v[10:11], v[12:13] offset0:4 offset1:5
	ds_store_2addr_b64 v27, v[10:11], v[12:13] offset0:2 offset1:3
	v_lshrrev_b64 v[0:1], s14, v[14:15]
	s_not_b32 s20, s13
	s_waitcnt lgkmcnt(0)
	s_barrier
	buffer_gl0_inv
	v_and_b32_e32 v1, s20, v0
	; wave barrier
	v_dual_mov_b32 v39, v42 :: v_dual_mov_b32 v40, v41
	s_delay_alu instid0(VALU_DEP_2)
	v_and_b32_e32 v0, 1, v1
	v_lshlrev_b32_e32 v2, 30, v1
	v_lshlrev_b32_e32 v16, 29, v1
	v_lshlrev_b32_e32 v17, 28, v1
	v_lshlrev_b32_e32 v19, 27, v1
	v_add_co_u32 v0, s13, v0, -1
	s_delay_alu instid0(VALU_DEP_1)
	v_cndmask_b32_e64 v18, 0, 1, s13
	v_not_b32_e32 v37, v2
	v_cmp_gt_i32_e64 s13, 0, v2
	v_not_b32_e32 v2, v16
	v_lshlrev_b32_e32 v20, 26, v1
	v_cmp_ne_u32_e32 vcc_lo, 0, v18
	v_ashrrev_i32_e32 v37, 31, v37
	v_lshlrev_b32_e32 v18, 24, v1
	v_ashrrev_i32_e32 v2, 31, v2
	v_xor_b32_e32 v0, vcc_lo, v0
	v_cmp_gt_i32_e32 vcc_lo, 0, v16
	v_not_b32_e32 v16, v17
	v_xor_b32_e32 v37, s13, v37
	v_cmp_gt_i32_e64 s13, 0, v17
	v_and_b32_e32 v0, exec_lo, v0
	v_xor_b32_e32 v2, vcc_lo, v2
	v_ashrrev_i32_e32 v16, 31, v16
	v_not_b32_e32 v17, v19
	v_cmp_gt_i32_e32 vcc_lo, 0, v19
	v_and_b32_e32 v0, v0, v37
	v_not_b32_e32 v19, v20
	v_xor_b32_e32 v16, s13, v16
	v_ashrrev_i32_e32 v17, 31, v17
	v_cmp_gt_i32_e64 s13, 0, v20
	v_and_b32_e32 v0, v0, v2
	v_ashrrev_i32_e32 v19, 31, v19
	s_delay_alu instid0(VALU_DEP_4) | instskip(NEXT) | instid1(VALU_DEP_3)
	v_xor_b32_e32 v17, vcc_lo, v17
	v_and_b32_e32 v0, v0, v16
	v_not_b32_e32 v16, v18
	s_delay_alu instid0(VALU_DEP_4) | instskip(SKIP_1) | instid1(VALU_DEP_4)
	v_xor_b32_e32 v19, s13, v19
	v_cmp_gt_i32_e64 s13, 0, v18
	v_and_b32_e32 v0, v0, v17
	s_delay_alu instid0(VALU_DEP_4) | instskip(NEXT) | instid1(VALU_DEP_2)
	v_ashrrev_i32_e32 v16, 31, v16
	v_and_b32_e32 v0, v0, v19
	s_delay_alu instid0(VALU_DEP_2) | instskip(SKIP_4) | instid1(VALU_DEP_3)
	v_xor_b32_e32 v37, s13, v16
	v_dual_mov_b32 v17, v8 :: v_dual_mov_b32 v16, v7
	v_lshlrev_b32_e32 v21, 25, v1
	v_lshl_add_u32 v1, v1, 3, v29
	v_dual_mov_b32 v19, v6 :: v_dual_mov_b32 v18, v5
	v_not_b32_e32 v2, v21
	v_cmp_gt_i32_e32 vcc_lo, 0, v21
	v_dual_mov_b32 v21, v4 :: v_dual_mov_b32 v20, v3
	v_lshl_add_u32 v41, v1, 2, 32
	s_delay_alu instid0(VALU_DEP_4) | instskip(NEXT) | instid1(VALU_DEP_1)
	v_ashrrev_i32_e32 v2, 31, v2
	v_xor_b32_e32 v2, vcc_lo, v2
	s_delay_alu instid0(VALU_DEP_1) | instskip(NEXT) | instid1(VALU_DEP_1)
	v_and_b32_e32 v0, v0, v2
	v_and_b32_e32 v0, v0, v37
	v_mov_b32_e32 v37, v44
	s_delay_alu instid0(VALU_DEP_2) | instskip(SKIP_1) | instid1(VALU_DEP_2)
	v_mbcnt_lo_u32_b32 v8, v0, 0
	v_cmp_ne_u32_e64 s13, 0, v0
	v_cmp_eq_u32_e32 vcc_lo, 0, v8
	s_delay_alu instid0(VALU_DEP_2) | instskip(NEXT) | instid1(SALU_CYCLE_1)
	s_and_b32 s21, s13, vcc_lo
	s_and_saveexec_b32 s13, s21
	s_cbranch_execz .LBB16_21
; %bb.20:                               ;   in Loop: Header=BB16_19 Depth=1
	v_bcnt_u32_b32 v0, v0, 0
	ds_store_b32 v41, v0
.LBB16_21:                              ;   in Loop: Header=BB16_19 Depth=1
	s_or_b32 exec_lo, exec_lo, s13
	v_lshrrev_b64 v[0:1], s14, v[20:21]
	; wave barrier
	s_delay_alu instid0(VALU_DEP_1) | instskip(NEXT) | instid1(VALU_DEP_1)
	v_and_b32_e32 v0, s20, v0
	v_and_b32_e32 v1, 1, v0
	v_lshlrev_b32_e32 v2, 30, v0
	v_lshlrev_b32_e32 v3, 29, v0
	;; [unrolled: 1-line block ×4, first 2 shown]
	v_add_co_u32 v1, s13, v1, -1
	s_delay_alu instid0(VALU_DEP_1)
	v_cndmask_b32_e64 v5, 0, 1, s13
	v_not_b32_e32 v43, v2
	v_cmp_gt_i32_e64 s13, 0, v2
	v_not_b32_e32 v2, v3
	v_lshlrev_b32_e32 v7, 26, v0
	v_cmp_ne_u32_e32 vcc_lo, 0, v5
	v_ashrrev_i32_e32 v43, 31, v43
	v_lshlrev_b32_e32 v42, 25, v0
	v_ashrrev_i32_e32 v2, 31, v2
	v_lshlrev_b32_e32 v5, 24, v0
	v_xor_b32_e32 v1, vcc_lo, v1
	v_cmp_gt_i32_e32 vcc_lo, 0, v3
	v_not_b32_e32 v3, v4
	v_xor_b32_e32 v43, s13, v43
	v_cmp_gt_i32_e64 s13, 0, v4
	v_and_b32_e32 v1, exec_lo, v1
	v_not_b32_e32 v4, v6
	v_ashrrev_i32_e32 v3, 31, v3
	v_xor_b32_e32 v2, vcc_lo, v2
	v_cmp_gt_i32_e32 vcc_lo, 0, v6
	v_and_b32_e32 v1, v1, v43
	v_not_b32_e32 v6, v7
	v_ashrrev_i32_e32 v4, 31, v4
	v_xor_b32_e32 v3, s13, v3
	v_cmp_gt_i32_e64 s13, 0, v7
	v_and_b32_e32 v1, v1, v2
	v_not_b32_e32 v2, v42
	v_ashrrev_i32_e32 v6, 31, v6
	v_xor_b32_e32 v4, vcc_lo, v4
	v_cmp_gt_i32_e32 vcc_lo, 0, v42
	v_and_b32_e32 v1, v1, v3
	v_not_b32_e32 v3, v5
	v_ashrrev_i32_e32 v2, 31, v2
	v_xor_b32_e32 v6, s13, v6
	v_lshlrev_b32_e32 v0, 3, v0
	v_and_b32_e32 v1, v1, v4
	v_cmp_gt_i32_e64 s13, 0, v5
	v_ashrrev_i32_e32 v3, 31, v3
	v_xor_b32_e32 v2, vcc_lo, v2
	v_add_lshl_u32 v4, v0, v29, 2
	v_and_b32_e32 v1, v1, v6
	s_delay_alu instid0(VALU_DEP_4) | instskip(SKIP_3) | instid1(VALU_DEP_2)
	v_xor_b32_e32 v0, s13, v3
	ds_load_b32 v42, v4 offset:32
	v_and_b32_e32 v1, v1, v2
	v_add_nc_u32_e32 v44, 32, v4
	; wave barrier
	v_and_b32_e32 v0, v1, v0
	s_delay_alu instid0(VALU_DEP_1) | instskip(SKIP_1) | instid1(VALU_DEP_2)
	v_mbcnt_lo_u32_b32 v43, v0, 0
	v_cmp_ne_u32_e64 s13, 0, v0
	v_cmp_eq_u32_e32 vcc_lo, 0, v43
	s_delay_alu instid0(VALU_DEP_2) | instskip(NEXT) | instid1(SALU_CYCLE_1)
	s_and_b32 s21, s13, vcc_lo
	s_and_saveexec_b32 s13, s21
	s_cbranch_execz .LBB16_23
; %bb.22:                               ;   in Loop: Header=BB16_19 Depth=1
	s_waitcnt lgkmcnt(0)
	v_bcnt_u32_b32 v0, v0, v42
	ds_store_b32 v44, v0
.LBB16_23:                              ;   in Loop: Header=BB16_19 Depth=1
	s_or_b32 exec_lo, exec_lo, s13
	v_lshrrev_b64 v[0:1], s14, v[18:19]
	; wave barrier
	s_delay_alu instid0(VALU_DEP_1) | instskip(NEXT) | instid1(VALU_DEP_1)
	v_and_b32_e32 v0, s20, v0
	v_and_b32_e32 v1, 1, v0
	v_lshlrev_b32_e32 v2, 30, v0
	v_lshlrev_b32_e32 v3, 29, v0
	;; [unrolled: 1-line block ×4, first 2 shown]
	v_add_co_u32 v1, s13, v1, -1
	s_delay_alu instid0(VALU_DEP_1)
	v_cndmask_b32_e64 v5, 0, 1, s13
	v_not_b32_e32 v46, v2
	v_cmp_gt_i32_e64 s13, 0, v2
	v_not_b32_e32 v2, v3
	v_lshlrev_b32_e32 v7, 26, v0
	v_cmp_ne_u32_e32 vcc_lo, 0, v5
	v_ashrrev_i32_e32 v46, 31, v46
	v_lshlrev_b32_e32 v45, 25, v0
	v_ashrrev_i32_e32 v2, 31, v2
	v_lshlrev_b32_e32 v5, 24, v0
	v_xor_b32_e32 v1, vcc_lo, v1
	v_cmp_gt_i32_e32 vcc_lo, 0, v3
	v_not_b32_e32 v3, v4
	v_xor_b32_e32 v46, s13, v46
	v_cmp_gt_i32_e64 s13, 0, v4
	v_and_b32_e32 v1, exec_lo, v1
	v_not_b32_e32 v4, v6
	v_ashrrev_i32_e32 v3, 31, v3
	v_xor_b32_e32 v2, vcc_lo, v2
	v_cmp_gt_i32_e32 vcc_lo, 0, v6
	v_and_b32_e32 v1, v1, v46
	v_not_b32_e32 v6, v7
	v_ashrrev_i32_e32 v4, 31, v4
	v_xor_b32_e32 v3, s13, v3
	v_cmp_gt_i32_e64 s13, 0, v7
	v_and_b32_e32 v1, v1, v2
	v_not_b32_e32 v2, v45
	v_ashrrev_i32_e32 v6, 31, v6
	v_xor_b32_e32 v4, vcc_lo, v4
	v_cmp_gt_i32_e32 vcc_lo, 0, v45
	v_and_b32_e32 v1, v1, v3
	v_not_b32_e32 v3, v5
	v_ashrrev_i32_e32 v2, 31, v2
	v_xor_b32_e32 v6, s13, v6
	v_lshlrev_b32_e32 v0, 3, v0
	v_and_b32_e32 v1, v1, v4
	v_cmp_gt_i32_e64 s13, 0, v5
	v_ashrrev_i32_e32 v3, 31, v3
	v_xor_b32_e32 v2, vcc_lo, v2
	v_add_lshl_u32 v4, v0, v29, 2
	v_and_b32_e32 v1, v1, v6
	s_delay_alu instid0(VALU_DEP_4) | instskip(SKIP_3) | instid1(VALU_DEP_2)
	v_xor_b32_e32 v0, s13, v3
	ds_load_b32 v45, v4 offset:32
	v_and_b32_e32 v1, v1, v2
	v_add_nc_u32_e32 v47, 32, v4
	; wave barrier
	v_and_b32_e32 v0, v1, v0
	s_delay_alu instid0(VALU_DEP_1) | instskip(SKIP_1) | instid1(VALU_DEP_2)
	v_mbcnt_lo_u32_b32 v46, v0, 0
	v_cmp_ne_u32_e64 s13, 0, v0
	v_cmp_eq_u32_e32 vcc_lo, 0, v46
	s_delay_alu instid0(VALU_DEP_2) | instskip(NEXT) | instid1(SALU_CYCLE_1)
	s_and_b32 s21, s13, vcc_lo
	s_and_saveexec_b32 s13, s21
	s_cbranch_execz .LBB16_25
; %bb.24:                               ;   in Loop: Header=BB16_19 Depth=1
	s_waitcnt lgkmcnt(0)
	v_bcnt_u32_b32 v0, v0, v45
	ds_store_b32 v47, v0
.LBB16_25:                              ;   in Loop: Header=BB16_19 Depth=1
	s_or_b32 exec_lo, exec_lo, s13
	v_lshrrev_b64 v[0:1], s14, v[16:17]
	; wave barrier
	s_delay_alu instid0(VALU_DEP_1) | instskip(NEXT) | instid1(VALU_DEP_1)
	v_and_b32_e32 v0, s20, v0
	v_and_b32_e32 v1, 1, v0
	v_lshlrev_b32_e32 v2, 30, v0
	v_lshlrev_b32_e32 v3, 29, v0
	;; [unrolled: 1-line block ×4, first 2 shown]
	v_add_co_u32 v1, s13, v1, -1
	s_delay_alu instid0(VALU_DEP_1)
	v_cndmask_b32_e64 v5, 0, 1, s13
	v_not_b32_e32 v49, v2
	v_cmp_gt_i32_e64 s13, 0, v2
	v_not_b32_e32 v2, v3
	v_lshlrev_b32_e32 v7, 26, v0
	v_cmp_ne_u32_e32 vcc_lo, 0, v5
	v_ashrrev_i32_e32 v49, 31, v49
	v_lshlrev_b32_e32 v48, 25, v0
	v_ashrrev_i32_e32 v2, 31, v2
	v_lshlrev_b32_e32 v5, 24, v0
	v_xor_b32_e32 v1, vcc_lo, v1
	v_cmp_gt_i32_e32 vcc_lo, 0, v3
	v_not_b32_e32 v3, v4
	v_xor_b32_e32 v49, s13, v49
	v_cmp_gt_i32_e64 s13, 0, v4
	v_and_b32_e32 v1, exec_lo, v1
	v_not_b32_e32 v4, v6
	v_ashrrev_i32_e32 v3, 31, v3
	v_xor_b32_e32 v2, vcc_lo, v2
	v_cmp_gt_i32_e32 vcc_lo, 0, v6
	v_and_b32_e32 v1, v1, v49
	v_not_b32_e32 v6, v7
	v_ashrrev_i32_e32 v4, 31, v4
	v_xor_b32_e32 v3, s13, v3
	v_cmp_gt_i32_e64 s13, 0, v7
	v_and_b32_e32 v1, v1, v2
	v_not_b32_e32 v2, v48
	v_ashrrev_i32_e32 v6, 31, v6
	v_xor_b32_e32 v4, vcc_lo, v4
	v_cmp_gt_i32_e32 vcc_lo, 0, v48
	v_and_b32_e32 v1, v1, v3
	v_not_b32_e32 v3, v5
	v_ashrrev_i32_e32 v2, 31, v2
	v_xor_b32_e32 v6, s13, v6
	v_lshlrev_b32_e32 v0, 3, v0
	v_and_b32_e32 v1, v1, v4
	v_cmp_gt_i32_e64 s13, 0, v5
	v_ashrrev_i32_e32 v3, 31, v3
	v_xor_b32_e32 v2, vcc_lo, v2
	v_add_lshl_u32 v4, v0, v29, 2
	v_and_b32_e32 v1, v1, v6
	s_delay_alu instid0(VALU_DEP_4) | instskip(SKIP_3) | instid1(VALU_DEP_2)
	v_xor_b32_e32 v0, s13, v3
	ds_load_b32 v48, v4 offset:32
	v_and_b32_e32 v1, v1, v2
	v_add_nc_u32_e32 v50, 32, v4
	; wave barrier
	v_and_b32_e32 v0, v1, v0
	s_delay_alu instid0(VALU_DEP_1) | instskip(SKIP_1) | instid1(VALU_DEP_2)
	v_mbcnt_lo_u32_b32 v49, v0, 0
	v_cmp_ne_u32_e64 s13, 0, v0
	v_cmp_eq_u32_e32 vcc_lo, 0, v49
	s_delay_alu instid0(VALU_DEP_2) | instskip(NEXT) | instid1(SALU_CYCLE_1)
	s_and_b32 s20, s13, vcc_lo
	s_and_saveexec_b32 s13, s20
	s_cbranch_execz .LBB16_27
; %bb.26:                               ;   in Loop: Header=BB16_19 Depth=1
	s_waitcnt lgkmcnt(0)
	v_bcnt_u32_b32 v0, v0, v48
	ds_store_b32 v50, v0
.LBB16_27:                              ;   in Loop: Header=BB16_19 Depth=1
	s_or_b32 exec_lo, exec_lo, s13
	; wave barrier
	s_waitcnt lgkmcnt(0)
	s_barrier
	buffer_gl0_inv
	ds_load_2addr_b64 v[4:7], v26 offset0:4 offset1:5
	ds_load_2addr_b64 v[0:3], v27 offset0:2 offset1:3
	s_waitcnt lgkmcnt(1)
	v_add_nc_u32_e32 v51, v5, v4
	s_delay_alu instid0(VALU_DEP_1) | instskip(SKIP_1) | instid1(VALU_DEP_1)
	v_add3_u32 v51, v51, v6, v7
	s_waitcnt lgkmcnt(0)
	v_add3_u32 v51, v51, v0, v1
	s_delay_alu instid0(VALU_DEP_1) | instskip(NEXT) | instid1(VALU_DEP_1)
	v_add3_u32 v3, v51, v2, v3
	v_mov_b32_dpp v51, v3 row_shr:1 row_mask:0xf bank_mask:0xf
	s_delay_alu instid0(VALU_DEP_1) | instskip(NEXT) | instid1(VALU_DEP_1)
	v_cndmask_b32_e64 v51, v51, 0, s2
	v_add_nc_u32_e32 v3, v51, v3
	s_delay_alu instid0(VALU_DEP_1) | instskip(NEXT) | instid1(VALU_DEP_1)
	v_mov_b32_dpp v51, v3 row_shr:2 row_mask:0xf bank_mask:0xf
	v_cndmask_b32_e64 v51, 0, v51, s3
	s_delay_alu instid0(VALU_DEP_1) | instskip(NEXT) | instid1(VALU_DEP_1)
	v_add_nc_u32_e32 v3, v3, v51
	v_mov_b32_dpp v51, v3 row_shr:4 row_mask:0xf bank_mask:0xf
	s_delay_alu instid0(VALU_DEP_1) | instskip(NEXT) | instid1(VALU_DEP_1)
	v_cndmask_b32_e64 v51, 0, v51, s4
	v_add_nc_u32_e32 v3, v3, v51
	s_delay_alu instid0(VALU_DEP_1) | instskip(NEXT) | instid1(VALU_DEP_1)
	v_mov_b32_dpp v51, v3 row_shr:8 row_mask:0xf bank_mask:0xf
	v_cndmask_b32_e64 v51, 0, v51, s5
	s_delay_alu instid0(VALU_DEP_1) | instskip(SKIP_3) | instid1(VALU_DEP_1)
	v_add_nc_u32_e32 v3, v3, v51
	ds_swizzle_b32 v51, v3 offset:swizzle(BROADCAST,32,15)
	s_waitcnt lgkmcnt(0)
	v_cndmask_b32_e64 v51, v51, 0, s6
	v_add_nc_u32_e32 v3, v3, v51
	s_and_saveexec_b32 s13, s7
	s_cbranch_execz .LBB16_29
; %bb.28:                               ;   in Loop: Header=BB16_19 Depth=1
	ds_store_b32 v30, v3
.LBB16_29:                              ;   in Loop: Header=BB16_19 Depth=1
	s_or_b32 exec_lo, exec_lo, s13
	s_waitcnt lgkmcnt(0)
	s_barrier
	buffer_gl0_inv
	s_and_saveexec_b32 s13, s0
	s_cbranch_execz .LBB16_31
; %bb.30:                               ;   in Loop: Header=BB16_19 Depth=1
	ds_load_b32 v51, v36
	s_waitcnt lgkmcnt(0)
	v_mov_b32_dpp v52, v51 row_shr:1 row_mask:0xf bank_mask:0xf
	s_delay_alu instid0(VALU_DEP_1) | instskip(NEXT) | instid1(VALU_DEP_1)
	v_cndmask_b32_e64 v52, v52, 0, s10
	v_add_nc_u32_e32 v51, v52, v51
	s_delay_alu instid0(VALU_DEP_1) | instskip(NEXT) | instid1(VALU_DEP_1)
	v_mov_b32_dpp v52, v51 row_shr:2 row_mask:0xf bank_mask:0xf
	v_cndmask_b32_e64 v52, 0, v52, s11
	s_delay_alu instid0(VALU_DEP_1) | instskip(NEXT) | instid1(VALU_DEP_1)
	v_add_nc_u32_e32 v51, v51, v52
	v_mov_b32_dpp v52, v51 row_shr:4 row_mask:0xf bank_mask:0xf
	s_delay_alu instid0(VALU_DEP_1) | instskip(NEXT) | instid1(VALU_DEP_1)
	v_cndmask_b32_e64 v52, 0, v52, s12
	v_add_nc_u32_e32 v51, v51, v52
	ds_store_b32 v36, v51
.LBB16_31:                              ;   in Loop: Header=BB16_19 Depth=1
	s_or_b32 exec_lo, exec_lo, s13
	v_mov_b32_e32 v51, 0
	s_waitcnt lgkmcnt(0)
	s_barrier
	buffer_gl0_inv
	s_and_saveexec_b32 s13, s1
	s_cbranch_execz .LBB16_33
; %bb.32:                               ;   in Loop: Header=BB16_19 Depth=1
	ds_load_b32 v51, v31
.LBB16_33:                              ;   in Loop: Header=BB16_19 Depth=1
	s_or_b32 exec_lo, exec_lo, s13
	s_waitcnt lgkmcnt(0)
	v_add_nc_u32_e32 v3, v51, v3
	s_add_i32 s14, s14, 8
	s_delay_alu instid0(SALU_CYCLE_1) | instskip(SKIP_3) | instid1(VALU_DEP_1)
	s_cmp_ge_u32 s14, s17
	ds_bpermute_b32 v3, v28, v3
	s_waitcnt lgkmcnt(0)
	v_cndmask_b32_e64 v3, v3, v51, s8
	v_cndmask_b32_e64 v3, v3, 0, s9
	s_delay_alu instid0(VALU_DEP_1) | instskip(NEXT) | instid1(VALU_DEP_1)
	v_add_nc_u32_e32 v4, v3, v4
	v_add_nc_u32_e32 v5, v4, v5
	s_delay_alu instid0(VALU_DEP_1) | instskip(NEXT) | instid1(VALU_DEP_1)
	v_add_nc_u32_e32 v6, v5, v6
	v_add_nc_u32_e32 v51, v6, v7
	;; [unrolled: 3-line block ×3, first 2 shown]
	s_delay_alu instid0(VALU_DEP_1)
	v_add_nc_u32_e32 v1, v0, v2
	ds_store_2addr_b64 v26, v[3:4], v[5:6] offset0:4 offset1:5
	ds_store_2addr_b64 v27, v[51:52], v[0:1] offset0:2 offset1:3
	s_waitcnt lgkmcnt(0)
	s_barrier
	buffer_gl0_inv
	ds_load_b32 v0, v41
	ds_load_b32 v1, v44
	;; [unrolled: 1-line block ×4, first 2 shown]
	s_waitcnt lgkmcnt(0)
	v_add_nc_u32_e32 v47, v0, v8
	v_add3_u32 v50, v43, v42, v1
	v_add3_u32 v45, v46, v45, v2
	;; [unrolled: 1-line block ×3, first 2 shown]
	s_delay_alu instid0(VALU_DEP_4) | instskip(NEXT) | instid1(VALU_DEP_4)
	v_lshlrev_b32_e32 v48, 3, v47
	v_lshlrev_b32_e32 v49, 3, v50
	s_delay_alu instid0(VALU_DEP_4) | instskip(NEXT) | instid1(VALU_DEP_4)
	v_lshlrev_b32_e32 v51, 3, v45
	v_lshlrev_b32_e32 v0, 3, v46
	s_cbranch_scc0 .LBB16_18
; %bb.34:
                                        ; implicit-def: $vgpr7_vgpr8
                                        ; implicit-def: $sgpr14
                                        ; implicit-def: $vgpr41
                                        ; implicit-def: $vgpr42
                                        ; implicit-def: $vgpr43
                                        ; implicit-def: $vgpr44
.LBB16_35:
	v_lshlrev_b32_e32 v10, 3, v9
	s_barrier
	buffer_gl0_inv
	ds_store_b64 v48, v[14:15]
	ds_store_b64 v49, v[20:21]
	;; [unrolled: 1-line block ×4, first 2 shown]
	s_waitcnt lgkmcnt(0)
	s_barrier
	buffer_gl0_inv
	ds_load_2addr_stride64_b64 v[4:7], v10 offset1:4
	ds_load_2addr_stride64_b64 v[0:3], v10 offset0:8 offset1:12
	s_waitcnt lgkmcnt(0)
	s_barrier
	buffer_gl0_inv
	ds_store_b8 v47, v40
	ds_store_b8 v50, v39
	;; [unrolled: 1-line block ×4, first 2 shown]
	s_waitcnt lgkmcnt(0)
	s_barrier
	buffer_gl0_inv
	ds_load_u8 v14, v9
	ds_load_u8 v13, v9 offset:256
	ds_load_u8 v12, v9 offset:512
	;; [unrolled: 1-line block ×3, first 2 shown]
	s_add_u32 s0, s18, s26
	s_addc_u32 s1, s19, s27
	v_add_co_u32 v10, s0, s0, v10
	s_delay_alu instid0(VALU_DEP_1)
	v_add_co_ci_u32_e64 v11, null, s1, 0, s0
	s_mov_b32 s3, 0
	s_and_not1_b32 vcc_lo, exec_lo, s28
	s_mov_b32 s0, -1
	v_xor_b32_e32 v5, 0x80000000, v5
	v_xor_b32_e32 v7, 0x80000000, v7
	;; [unrolled: 1-line block ×4, first 2 shown]
	s_cbranch_vccz .LBB16_39
; %bb.36:
	s_and_not1_b32 vcc_lo, exec_lo, s0
	s_cbranch_vccz .LBB16_40
.LBB16_37:
	s_and_saveexec_b32 s0, s3
	s_cbranch_execnz .LBB16_53
.LBB16_38:
	s_nop 0
	s_sendmsg sendmsg(MSG_DEALLOC_VGPRS)
	s_endpgm
.LBB16_39:
	s_add_u32 s1, s22, s24
	s_addc_u32 s2, s23, 0
	v_add_co_u32 v17, s1, s1, v9
	v_add_co_u32 v15, vcc_lo, 0x1000, v10
	v_add_co_ci_u32_e64 v18, null, s2, 0, s1
	v_add_co_ci_u32_e32 v16, vcc_lo, 0, v11, vcc_lo
	s_mov_b32 s3, -1
	s_clause 0x3
	global_store_b64 v[10:11], v[4:5], off
	global_store_b64 v[10:11], v[6:7], off offset:2048
	global_store_b64 v[15:16], v[0:1], off
	global_store_b64 v[15:16], v[2:3], off offset:2048
	s_waitcnt lgkmcnt(3)
	global_store_b8 v[17:18], v14, off
	s_waitcnt lgkmcnt(2)
	global_store_b8 v[17:18], v13, off offset:256
	s_waitcnt lgkmcnt(1)
	global_store_b8 v[17:18], v12, off offset:512
	s_cbranch_execnz .LBB16_37
.LBB16_40:
	v_cmp_gt_u32_e32 vcc_lo, s16, v9
	s_and_saveexec_b32 s0, vcc_lo
	s_cbranch_execz .LBB16_42
; %bb.41:
	global_store_b64 v[10:11], v[4:5], off
.LBB16_42:
	s_or_b32 exec_lo, exec_lo, s0
	v_add_nc_u32_e32 v4, 0x100, v9
	s_delay_alu instid0(VALU_DEP_1) | instskip(NEXT) | instid1(VALU_DEP_1)
	v_cmp_gt_u32_e64 s0, s16, v4
	s_and_saveexec_b32 s1, s0
	s_cbranch_execz .LBB16_44
; %bb.43:
	global_store_b64 v[10:11], v[6:7], off offset:2048
.LBB16_44:
	s_or_b32 exec_lo, exec_lo, s1
	v_add_nc_u32_e32 v4, 0x200, v9
	s_delay_alu instid0(VALU_DEP_1) | instskip(NEXT) | instid1(VALU_DEP_1)
	v_cmp_gt_u32_e64 s1, s16, v4
	s_and_saveexec_b32 s3, s1
	s_cbranch_execz .LBB16_46
; %bb.45:
	v_add_co_u32 v4, s2, 0x1000, v10
	s_delay_alu instid0(VALU_DEP_1)
	v_add_co_ci_u32_e64 v5, s2, 0, v11, s2
	global_store_b64 v[4:5], v[0:1], off
.LBB16_46:
	s_or_b32 exec_lo, exec_lo, s3
	v_add_nc_u32_e32 v0, 0x300, v9
	s_delay_alu instid0(VALU_DEP_1) | instskip(NEXT) | instid1(VALU_DEP_1)
	v_cmp_gt_u32_e64 s3, s16, v0
	s_and_saveexec_b32 s4, s3
	s_cbranch_execz .LBB16_48
; %bb.47:
	v_add_co_u32 v0, s2, 0x1000, v10
	s_delay_alu instid0(VALU_DEP_1)
	v_add_co_ci_u32_e64 v1, s2, 0, v11, s2
	global_store_b64 v[0:1], v[2:3], off offset:2048
.LBB16_48:
	s_or_b32 exec_lo, exec_lo, s4
	s_add_u32 s2, s22, s24
	s_addc_u32 s4, s23, 0
	v_add_co_u32 v0, s2, s2, v9
	s_delay_alu instid0(VALU_DEP_1)
	v_add_co_ci_u32_e64 v1, null, s4, 0, s2
	s_and_saveexec_b32 s2, vcc_lo
	s_cbranch_execnz .LBB16_57
; %bb.49:
	s_or_b32 exec_lo, exec_lo, s2
	s_and_saveexec_b32 s2, s0
	s_cbranch_execnz .LBB16_58
.LBB16_50:
	s_or_b32 exec_lo, exec_lo, s2
	s_and_saveexec_b32 s0, s1
	s_cbranch_execz .LBB16_52
.LBB16_51:
	s_waitcnt lgkmcnt(1)
	global_store_b8 v[0:1], v12, off offset:512
.LBB16_52:
	s_or_b32 exec_lo, exec_lo, s0
	s_and_saveexec_b32 s0, s3
	s_cbranch_execz .LBB16_38
.LBB16_53:
	s_add_u32 s0, s22, s24
	s_addc_u32 s1, s23, 0
	v_add_co_u32 v0, s0, s0, v9
	s_delay_alu instid0(VALU_DEP_1)
	v_add_co_ci_u32_e64 v1, null, s1, 0, s0
	s_waitcnt lgkmcnt(0)
	global_store_b8 v[0:1], v8, off offset:768
	s_nop 0
	s_sendmsg sendmsg(MSG_DEALLOC_VGPRS)
	s_endpgm
.LBB16_54:
	global_load_u8 v41, v[10:11], off
	s_or_b32 exec_lo, exec_lo, s5
                                        ; implicit-def: $vgpr42
	s_and_saveexec_b32 s5, s2
	s_cbranch_execz .LBB16_13
.LBB16_55:
	global_load_u8 v42, v[10:11], off offset:32
	s_or_b32 exec_lo, exec_lo, s5
                                        ; implicit-def: $vgpr43
	s_and_saveexec_b32 s2, s3
	s_cbranch_execz .LBB16_14
.LBB16_56:
	global_load_u8 v43, v[10:11], off offset:64
	s_or_b32 exec_lo, exec_lo, s2
                                        ; implicit-def: $vgpr44
	s_and_saveexec_b32 s2, s4
	s_cbranch_execnz .LBB16_15
	s_branch .LBB16_16
.LBB16_57:
	s_waitcnt lgkmcnt(3)
	global_store_b8 v[0:1], v14, off
	s_or_b32 exec_lo, exec_lo, s2
	s_and_saveexec_b32 s2, s0
	s_cbranch_execz .LBB16_50
.LBB16_58:
	s_waitcnt lgkmcnt(2)
	global_store_b8 v[0:1], v13, off offset:256
	s_or_b32 exec_lo, exec_lo, s2
	s_and_saveexec_b32 s0, s1
	s_cbranch_execnz .LBB16_51
	s_branch .LBB16_52
	.section	.rodata,"a",@progbits
	.p2align	6, 0x0
	.amdhsa_kernel _ZN7rocprim17ROCPRIM_304000_NS6detail28radix_sort_block_sort_kernelINS1_36wrapped_radix_sort_block_sort_configINS0_13kernel_configILj256ELj4ELj4294967295EEElN2at4cuda3cub6detail10OpaqueTypeILi1EEEEELb0EPKlPlPKSB_PSB_NS0_19identity_decomposerEEEvT1_T2_T3_T4_jT5_jj
		.amdhsa_group_segment_fixed_size 8224
		.amdhsa_private_segment_fixed_size 0
		.amdhsa_kernarg_size 304
		.amdhsa_user_sgpr_count 15
		.amdhsa_user_sgpr_dispatch_ptr 0
		.amdhsa_user_sgpr_queue_ptr 0
		.amdhsa_user_sgpr_kernarg_segment_ptr 1
		.amdhsa_user_sgpr_dispatch_id 0
		.amdhsa_user_sgpr_private_segment_size 0
		.amdhsa_wavefront_size32 1
		.amdhsa_uses_dynamic_stack 0
		.amdhsa_enable_private_segment 0
		.amdhsa_system_sgpr_workgroup_id_x 1
		.amdhsa_system_sgpr_workgroup_id_y 0
		.amdhsa_system_sgpr_workgroup_id_z 0
		.amdhsa_system_sgpr_workgroup_info 0
		.amdhsa_system_vgpr_workitem_id 2
		.amdhsa_next_free_vgpr 53
		.amdhsa_next_free_sgpr 32
		.amdhsa_reserve_vcc 1
		.amdhsa_float_round_mode_32 0
		.amdhsa_float_round_mode_16_64 0
		.amdhsa_float_denorm_mode_32 3
		.amdhsa_float_denorm_mode_16_64 3
		.amdhsa_dx10_clamp 1
		.amdhsa_ieee_mode 1
		.amdhsa_fp16_overflow 0
		.amdhsa_workgroup_processor_mode 1
		.amdhsa_memory_ordered 1
		.amdhsa_forward_progress 0
		.amdhsa_shared_vgpr_count 0
		.amdhsa_exception_fp_ieee_invalid_op 0
		.amdhsa_exception_fp_denorm_src 0
		.amdhsa_exception_fp_ieee_div_zero 0
		.amdhsa_exception_fp_ieee_overflow 0
		.amdhsa_exception_fp_ieee_underflow 0
		.amdhsa_exception_fp_ieee_inexact 0
		.amdhsa_exception_int_div_zero 0
	.end_amdhsa_kernel
	.section	.text._ZN7rocprim17ROCPRIM_304000_NS6detail28radix_sort_block_sort_kernelINS1_36wrapped_radix_sort_block_sort_configINS0_13kernel_configILj256ELj4ELj4294967295EEElN2at4cuda3cub6detail10OpaqueTypeILi1EEEEELb0EPKlPlPKSB_PSB_NS0_19identity_decomposerEEEvT1_T2_T3_T4_jT5_jj,"axG",@progbits,_ZN7rocprim17ROCPRIM_304000_NS6detail28radix_sort_block_sort_kernelINS1_36wrapped_radix_sort_block_sort_configINS0_13kernel_configILj256ELj4ELj4294967295EEElN2at4cuda3cub6detail10OpaqueTypeILi1EEEEELb0EPKlPlPKSB_PSB_NS0_19identity_decomposerEEEvT1_T2_T3_T4_jT5_jj,comdat
.Lfunc_end16:
	.size	_ZN7rocprim17ROCPRIM_304000_NS6detail28radix_sort_block_sort_kernelINS1_36wrapped_radix_sort_block_sort_configINS0_13kernel_configILj256ELj4ELj4294967295EEElN2at4cuda3cub6detail10OpaqueTypeILi1EEEEELb0EPKlPlPKSB_PSB_NS0_19identity_decomposerEEEvT1_T2_T3_T4_jT5_jj, .Lfunc_end16-_ZN7rocprim17ROCPRIM_304000_NS6detail28radix_sort_block_sort_kernelINS1_36wrapped_radix_sort_block_sort_configINS0_13kernel_configILj256ELj4ELj4294967295EEElN2at4cuda3cub6detail10OpaqueTypeILi1EEEEELb0EPKlPlPKSB_PSB_NS0_19identity_decomposerEEEvT1_T2_T3_T4_jT5_jj
                                        ; -- End function
	.section	.AMDGPU.csdata,"",@progbits
; Kernel info:
; codeLenInByte = 4088
; NumSgprs: 34
; NumVgprs: 53
; ScratchSize: 0
; MemoryBound: 1
; FloatMode: 240
; IeeeMode: 1
; LDSByteSize: 8224 bytes/workgroup (compile time only)
; SGPRBlocks: 4
; VGPRBlocks: 6
; NumSGPRsForWavesPerEU: 34
; NumVGPRsForWavesPerEU: 53
; Occupancy: 16
; WaveLimiterHint : 1
; COMPUTE_PGM_RSRC2:SCRATCH_EN: 0
; COMPUTE_PGM_RSRC2:USER_SGPR: 15
; COMPUTE_PGM_RSRC2:TRAP_HANDLER: 0
; COMPUTE_PGM_RSRC2:TGID_X_EN: 1
; COMPUTE_PGM_RSRC2:TGID_Y_EN: 0
; COMPUTE_PGM_RSRC2:TGID_Z_EN: 0
; COMPUTE_PGM_RSRC2:TIDIG_COMP_CNT: 2
	.section	.text._ZN7rocprim17ROCPRIM_304000_NS6detail45device_block_merge_mergepath_partition_kernelINS1_37wrapped_merge_sort_block_merge_configINS0_14default_configElN2at4cuda3cub6detail10OpaqueTypeILi1EEEEEPljNS1_19radix_merge_compareILb0ELb0ElNS0_19identity_decomposerEEEEEvT0_T1_jPSH_T2_SH_,"axG",@progbits,_ZN7rocprim17ROCPRIM_304000_NS6detail45device_block_merge_mergepath_partition_kernelINS1_37wrapped_merge_sort_block_merge_configINS0_14default_configElN2at4cuda3cub6detail10OpaqueTypeILi1EEEEEPljNS1_19radix_merge_compareILb0ELb0ElNS0_19identity_decomposerEEEEEvT0_T1_jPSH_T2_SH_,comdat
	.protected	_ZN7rocprim17ROCPRIM_304000_NS6detail45device_block_merge_mergepath_partition_kernelINS1_37wrapped_merge_sort_block_merge_configINS0_14default_configElN2at4cuda3cub6detail10OpaqueTypeILi1EEEEEPljNS1_19radix_merge_compareILb0ELb0ElNS0_19identity_decomposerEEEEEvT0_T1_jPSH_T2_SH_ ; -- Begin function _ZN7rocprim17ROCPRIM_304000_NS6detail45device_block_merge_mergepath_partition_kernelINS1_37wrapped_merge_sort_block_merge_configINS0_14default_configElN2at4cuda3cub6detail10OpaqueTypeILi1EEEEEPljNS1_19radix_merge_compareILb0ELb0ElNS0_19identity_decomposerEEEEEvT0_T1_jPSH_T2_SH_
	.globl	_ZN7rocprim17ROCPRIM_304000_NS6detail45device_block_merge_mergepath_partition_kernelINS1_37wrapped_merge_sort_block_merge_configINS0_14default_configElN2at4cuda3cub6detail10OpaqueTypeILi1EEEEEPljNS1_19radix_merge_compareILb0ELb0ElNS0_19identity_decomposerEEEEEvT0_T1_jPSH_T2_SH_
	.p2align	8
	.type	_ZN7rocprim17ROCPRIM_304000_NS6detail45device_block_merge_mergepath_partition_kernelINS1_37wrapped_merge_sort_block_merge_configINS0_14default_configElN2at4cuda3cub6detail10OpaqueTypeILi1EEEEEPljNS1_19radix_merge_compareILb0ELb0ElNS0_19identity_decomposerEEEEEvT0_T1_jPSH_T2_SH_,@function
_ZN7rocprim17ROCPRIM_304000_NS6detail45device_block_merge_mergepath_partition_kernelINS1_37wrapped_merge_sort_block_merge_configINS0_14default_configElN2at4cuda3cub6detail10OpaqueTypeILi1EEEEEPljNS1_19radix_merge_compareILb0ELb0ElNS0_19identity_decomposerEEEEEvT0_T1_jPSH_T2_SH_: ; @_ZN7rocprim17ROCPRIM_304000_NS6detail45device_block_merge_mergepath_partition_kernelINS1_37wrapped_merge_sort_block_merge_configINS0_14default_configElN2at4cuda3cub6detail10OpaqueTypeILi1EEEEEPljNS1_19radix_merge_compareILb0ELb0ElNS0_19identity_decomposerEEEEEvT0_T1_jPSH_T2_SH_
; %bb.0:
	s_load_b64 s[2:3], s[0:1], 0x8
	v_lshl_or_b32 v0, s15, 7, v0
	s_waitcnt lgkmcnt(0)
	s_delay_alu instid0(VALU_DEP_1)
	v_cmp_gt_u32_e32 vcc_lo, s3, v0
	s_and_saveexec_b32 s3, vcc_lo
	s_cbranch_execz .LBB17_6
; %bb.1:
	s_load_b32 s3, s[0:1], 0x1c
	s_waitcnt lgkmcnt(0)
	s_lshr_b32 s4, s3, 9
	s_delay_alu instid0(SALU_CYCLE_1) | instskip(NEXT) | instid1(SALU_CYCLE_1)
	s_and_b32 s4, s4, 0x7ffffe
	s_sub_i32 s5, 0, s4
	s_add_i32 s4, s4, -1
	v_and_b32_e32 v1, s5, v0
	v_and_b32_e32 v5, s4, v0
	s_delay_alu instid0(VALU_DEP_2) | instskip(NEXT) | instid1(VALU_DEP_1)
	v_lshlrev_b32_e32 v1, 10, v1
	v_add_nc_u32_e32 v2, s3, v1
	s_delay_alu instid0(VALU_DEP_1) | instskip(SKIP_1) | instid1(VALU_DEP_2)
	v_min_u32_e32 v4, s2, v2
	v_min_u32_e32 v2, s2, v1
	v_add_nc_u32_e32 v3, s3, v4
	s_delay_alu instid0(VALU_DEP_1) | instskip(SKIP_2) | instid1(VALU_DEP_2)
	v_min_u32_e32 v1, s2, v3
	v_lshlrev_b32_e32 v3, 10, v5
	s_mov_b32 s2, exec_lo
	v_sub_nc_u32_e32 v5, v1, v2
	v_sub_nc_u32_e32 v6, v1, v4
	s_delay_alu instid0(VALU_DEP_2) | instskip(SKIP_1) | instid1(VALU_DEP_2)
	v_min_u32_e32 v1, v5, v3
	v_sub_nc_u32_e32 v3, v4, v2
	v_sub_nc_u32_e64 v6, v1, v6 clamp
	s_delay_alu instid0(VALU_DEP_2) | instskip(NEXT) | instid1(VALU_DEP_1)
	v_min_u32_e32 v7, v1, v3
	v_cmpx_lt_u32_e64 v6, v7
	s_cbranch_execz .LBB17_5
; %bb.2:
	s_load_b64 s[4:5], s[0:1], 0x0
	v_mov_b32_e32 v5, 0
	s_mov_b32 s3, 0
	s_delay_alu instid0(VALU_DEP_1) | instskip(SKIP_1) | instid1(VALU_DEP_2)
	v_mov_b32_e32 v3, v5
	v_lshlrev_b64 v[10:11], 3, v[4:5]
	v_lshlrev_b64 v[8:9], 3, v[2:3]
	s_waitcnt lgkmcnt(0)
	s_delay_alu instid0(VALU_DEP_1) | instskip(NEXT) | instid1(VALU_DEP_2)
	v_add_co_u32 v3, vcc_lo, s4, v8
	v_add_co_ci_u32_e32 v8, vcc_lo, s5, v9, vcc_lo
	s_delay_alu instid0(VALU_DEP_4)
	v_add_co_u32 v9, vcc_lo, s4, v10
	v_add_co_ci_u32_e32 v10, vcc_lo, s5, v11, vcc_lo
	.p2align	6
.LBB17_3:                               ; =>This Inner Loop Header: Depth=1
	v_add_nc_u32_e32 v4, v7, v6
	s_delay_alu instid0(VALU_DEP_1) | instskip(SKIP_1) | instid1(VALU_DEP_2)
	v_lshrrev_b32_e32 v4, 1, v4
	v_mov_b32_e32 v12, v5
	v_xad_u32 v11, v4, -1, v1
	v_lshlrev_b64 v[13:14], 3, v[4:5]
	s_delay_alu instid0(VALU_DEP_2) | instskip(NEXT) | instid1(VALU_DEP_2)
	v_lshlrev_b64 v[11:12], 3, v[11:12]
	v_add_co_u32 v13, vcc_lo, v3, v13
	s_delay_alu instid0(VALU_DEP_3) | instskip(NEXT) | instid1(VALU_DEP_3)
	v_add_co_ci_u32_e32 v14, vcc_lo, v8, v14, vcc_lo
	v_add_co_u32 v11, vcc_lo, v9, v11
	s_delay_alu instid0(VALU_DEP_4)
	v_add_co_ci_u32_e32 v12, vcc_lo, v10, v12, vcc_lo
	s_clause 0x1
	global_load_b64 v[13:14], v[13:14], off
	global_load_b64 v[11:12], v[11:12], off
	s_waitcnt vmcnt(0)
	v_cmp_gt_i64_e32 vcc_lo, v[13:14], v[11:12]
	v_add_nc_u32_e32 v11, 1, v4
	v_cndmask_b32_e32 v7, v7, v4, vcc_lo
	s_delay_alu instid0(VALU_DEP_2) | instskip(NEXT) | instid1(VALU_DEP_1)
	v_cndmask_b32_e32 v6, v11, v6, vcc_lo
	v_cmp_ge_u32_e32 vcc_lo, v6, v7
	s_or_b32 s3, vcc_lo, s3
	s_delay_alu instid0(SALU_CYCLE_1)
	s_and_not1_b32 exec_lo, exec_lo, s3
	s_cbranch_execnz .LBB17_3
; %bb.4:
	s_or_b32 exec_lo, exec_lo, s3
.LBB17_5:
	s_delay_alu instid0(SALU_CYCLE_1) | instskip(SKIP_2) | instid1(VALU_DEP_1)
	s_or_b32 exec_lo, exec_lo, s2
	s_load_b64 s[0:1], s[0:1], 0x10
	v_dual_mov_b32 v1, 0 :: v_dual_add_nc_u32 v2, v6, v2
	v_lshlrev_b64 v[0:1], 2, v[0:1]
	s_waitcnt lgkmcnt(0)
	s_delay_alu instid0(VALU_DEP_1) | instskip(NEXT) | instid1(VALU_DEP_2)
	v_add_co_u32 v0, vcc_lo, s0, v0
	v_add_co_ci_u32_e32 v1, vcc_lo, s1, v1, vcc_lo
	global_store_b32 v[0:1], v2, off
.LBB17_6:
	s_nop 0
	s_sendmsg sendmsg(MSG_DEALLOC_VGPRS)
	s_endpgm
	.section	.rodata,"a",@progbits
	.p2align	6, 0x0
	.amdhsa_kernel _ZN7rocprim17ROCPRIM_304000_NS6detail45device_block_merge_mergepath_partition_kernelINS1_37wrapped_merge_sort_block_merge_configINS0_14default_configElN2at4cuda3cub6detail10OpaqueTypeILi1EEEEEPljNS1_19radix_merge_compareILb0ELb0ElNS0_19identity_decomposerEEEEEvT0_T1_jPSH_T2_SH_
		.amdhsa_group_segment_fixed_size 0
		.amdhsa_private_segment_fixed_size 0
		.amdhsa_kernarg_size 32
		.amdhsa_user_sgpr_count 15
		.amdhsa_user_sgpr_dispatch_ptr 0
		.amdhsa_user_sgpr_queue_ptr 0
		.amdhsa_user_sgpr_kernarg_segment_ptr 1
		.amdhsa_user_sgpr_dispatch_id 0
		.amdhsa_user_sgpr_private_segment_size 0
		.amdhsa_wavefront_size32 1
		.amdhsa_uses_dynamic_stack 0
		.amdhsa_enable_private_segment 0
		.amdhsa_system_sgpr_workgroup_id_x 1
		.amdhsa_system_sgpr_workgroup_id_y 0
		.amdhsa_system_sgpr_workgroup_id_z 0
		.amdhsa_system_sgpr_workgroup_info 0
		.amdhsa_system_vgpr_workitem_id 0
		.amdhsa_next_free_vgpr 15
		.amdhsa_next_free_sgpr 16
		.amdhsa_reserve_vcc 1
		.amdhsa_float_round_mode_32 0
		.amdhsa_float_round_mode_16_64 0
		.amdhsa_float_denorm_mode_32 3
		.amdhsa_float_denorm_mode_16_64 3
		.amdhsa_dx10_clamp 1
		.amdhsa_ieee_mode 1
		.amdhsa_fp16_overflow 0
		.amdhsa_workgroup_processor_mode 1
		.amdhsa_memory_ordered 1
		.amdhsa_forward_progress 0
		.amdhsa_shared_vgpr_count 0
		.amdhsa_exception_fp_ieee_invalid_op 0
		.amdhsa_exception_fp_denorm_src 0
		.amdhsa_exception_fp_ieee_div_zero 0
		.amdhsa_exception_fp_ieee_overflow 0
		.amdhsa_exception_fp_ieee_underflow 0
		.amdhsa_exception_fp_ieee_inexact 0
		.amdhsa_exception_int_div_zero 0
	.end_amdhsa_kernel
	.section	.text._ZN7rocprim17ROCPRIM_304000_NS6detail45device_block_merge_mergepath_partition_kernelINS1_37wrapped_merge_sort_block_merge_configINS0_14default_configElN2at4cuda3cub6detail10OpaqueTypeILi1EEEEEPljNS1_19radix_merge_compareILb0ELb0ElNS0_19identity_decomposerEEEEEvT0_T1_jPSH_T2_SH_,"axG",@progbits,_ZN7rocprim17ROCPRIM_304000_NS6detail45device_block_merge_mergepath_partition_kernelINS1_37wrapped_merge_sort_block_merge_configINS0_14default_configElN2at4cuda3cub6detail10OpaqueTypeILi1EEEEEPljNS1_19radix_merge_compareILb0ELb0ElNS0_19identity_decomposerEEEEEvT0_T1_jPSH_T2_SH_,comdat
.Lfunc_end17:
	.size	_ZN7rocprim17ROCPRIM_304000_NS6detail45device_block_merge_mergepath_partition_kernelINS1_37wrapped_merge_sort_block_merge_configINS0_14default_configElN2at4cuda3cub6detail10OpaqueTypeILi1EEEEEPljNS1_19radix_merge_compareILb0ELb0ElNS0_19identity_decomposerEEEEEvT0_T1_jPSH_T2_SH_, .Lfunc_end17-_ZN7rocprim17ROCPRIM_304000_NS6detail45device_block_merge_mergepath_partition_kernelINS1_37wrapped_merge_sort_block_merge_configINS0_14default_configElN2at4cuda3cub6detail10OpaqueTypeILi1EEEEEPljNS1_19radix_merge_compareILb0ELb0ElNS0_19identity_decomposerEEEEEvT0_T1_jPSH_T2_SH_
                                        ; -- End function
	.section	.AMDGPU.csdata,"",@progbits
; Kernel info:
; codeLenInByte = 464
; NumSgprs: 18
; NumVgprs: 15
; ScratchSize: 0
; MemoryBound: 0
; FloatMode: 240
; IeeeMode: 1
; LDSByteSize: 0 bytes/workgroup (compile time only)
; SGPRBlocks: 2
; VGPRBlocks: 1
; NumSGPRsForWavesPerEU: 18
; NumVGPRsForWavesPerEU: 15
; Occupancy: 16
; WaveLimiterHint : 0
; COMPUTE_PGM_RSRC2:SCRATCH_EN: 0
; COMPUTE_PGM_RSRC2:USER_SGPR: 15
; COMPUTE_PGM_RSRC2:TRAP_HANDLER: 0
; COMPUTE_PGM_RSRC2:TGID_X_EN: 1
; COMPUTE_PGM_RSRC2:TGID_Y_EN: 0
; COMPUTE_PGM_RSRC2:TGID_Z_EN: 0
; COMPUTE_PGM_RSRC2:TIDIG_COMP_CNT: 0
	.section	.text._ZN7rocprim17ROCPRIM_304000_NS6detail35device_block_merge_mergepath_kernelINS1_37wrapped_merge_sort_block_merge_configINS0_14default_configElN2at4cuda3cub6detail10OpaqueTypeILi1EEEEEPlSC_PSA_SD_jNS1_19radix_merge_compareILb0ELb0ElNS0_19identity_decomposerEEEEEvT0_T1_T2_T3_T4_SL_jT5_PKSL_NS1_7vsmem_tE,"axG",@progbits,_ZN7rocprim17ROCPRIM_304000_NS6detail35device_block_merge_mergepath_kernelINS1_37wrapped_merge_sort_block_merge_configINS0_14default_configElN2at4cuda3cub6detail10OpaqueTypeILi1EEEEEPlSC_PSA_SD_jNS1_19radix_merge_compareILb0ELb0ElNS0_19identity_decomposerEEEEEvT0_T1_T2_T3_T4_SL_jT5_PKSL_NS1_7vsmem_tE,comdat
	.protected	_ZN7rocprim17ROCPRIM_304000_NS6detail35device_block_merge_mergepath_kernelINS1_37wrapped_merge_sort_block_merge_configINS0_14default_configElN2at4cuda3cub6detail10OpaqueTypeILi1EEEEEPlSC_PSA_SD_jNS1_19radix_merge_compareILb0ELb0ElNS0_19identity_decomposerEEEEEvT0_T1_T2_T3_T4_SL_jT5_PKSL_NS1_7vsmem_tE ; -- Begin function _ZN7rocprim17ROCPRIM_304000_NS6detail35device_block_merge_mergepath_kernelINS1_37wrapped_merge_sort_block_merge_configINS0_14default_configElN2at4cuda3cub6detail10OpaqueTypeILi1EEEEEPlSC_PSA_SD_jNS1_19radix_merge_compareILb0ELb0ElNS0_19identity_decomposerEEEEEvT0_T1_T2_T3_T4_SL_jT5_PKSL_NS1_7vsmem_tE
	.globl	_ZN7rocprim17ROCPRIM_304000_NS6detail35device_block_merge_mergepath_kernelINS1_37wrapped_merge_sort_block_merge_configINS0_14default_configElN2at4cuda3cub6detail10OpaqueTypeILi1EEEEEPlSC_PSA_SD_jNS1_19radix_merge_compareILb0ELb0ElNS0_19identity_decomposerEEEEEvT0_T1_T2_T3_T4_SL_jT5_PKSL_NS1_7vsmem_tE
	.p2align	8
	.type	_ZN7rocprim17ROCPRIM_304000_NS6detail35device_block_merge_mergepath_kernelINS1_37wrapped_merge_sort_block_merge_configINS0_14default_configElN2at4cuda3cub6detail10OpaqueTypeILi1EEEEEPlSC_PSA_SD_jNS1_19radix_merge_compareILb0ELb0ElNS0_19identity_decomposerEEEEEvT0_T1_T2_T3_T4_SL_jT5_PKSL_NS1_7vsmem_tE,@function
_ZN7rocprim17ROCPRIM_304000_NS6detail35device_block_merge_mergepath_kernelINS1_37wrapped_merge_sort_block_merge_configINS0_14default_configElN2at4cuda3cub6detail10OpaqueTypeILi1EEEEEPlSC_PSA_SD_jNS1_19radix_merge_compareILb0ELb0ElNS0_19identity_decomposerEEEEEvT0_T1_T2_T3_T4_SL_jT5_PKSL_NS1_7vsmem_tE: ; @_ZN7rocprim17ROCPRIM_304000_NS6detail35device_block_merge_mergepath_kernelINS1_37wrapped_merge_sort_block_merge_configINS0_14default_configElN2at4cuda3cub6detail10OpaqueTypeILi1EEEEEPlSC_PSA_SD_jNS1_19radix_merge_compareILb0ELb0ElNS0_19identity_decomposerEEEEEvT0_T1_T2_T3_T4_SL_jT5_PKSL_NS1_7vsmem_tE
; %bb.0:
	s_clause 0x1
	s_load_b64 s[22:23], s[0:1], 0x40
	s_load_b128 s[16:19], s[0:1], 0x20
	s_add_u32 s20, s0, 64
	s_addc_u32 s21, s1, 0
	s_waitcnt lgkmcnt(0)
	s_mul_i32 s2, s23, s15
	s_delay_alu instid0(SALU_CYCLE_1) | instskip(NEXT) | instid1(SALU_CYCLE_1)
	s_add_i32 s2, s2, s14
	s_mul_i32 s2, s2, s22
	s_delay_alu instid0(SALU_CYCLE_1) | instskip(NEXT) | instid1(SALU_CYCLE_1)
	s_add_i32 s2, s2, s13
	s_cmp_ge_u32 s2, s18
	s_cbranch_scc1 .LBB18_53
; %bb.1:
	s_load_b64 s[4:5], s[0:1], 0x30
	s_lshr_b32 s27, s16, 10
	s_mov_b32 s15, 0
	s_cmp_lg_u32 s2, s27
	s_mov_b32 s3, s15
	s_cselect_b32 s23, -1, 0
	s_lshl_b64 s[6:7], s[2:3], 2
	v_mov_b32_e32 v2, 0
	s_mov_b32 s19, s15
	v_lshlrev_b32_e32 v9, 3, v0
	s_waitcnt lgkmcnt(0)
	s_add_u32 s4, s4, s6
	s_addc_u32 s5, s5, s7
	s_lshl_b32 s12, s2, 10
	s_load_b64 s[24:25], s[4:5], 0x0
	s_load_b256 s[4:11], s[0:1], 0x0
	global_load_b32 v1, v2, s[20:21] offset:14
	s_lshr_b32 s0, s17, 9
	s_delay_alu instid0(SALU_CYCLE_1) | instskip(NEXT) | instid1(SALU_CYCLE_1)
	s_and_b32 s0, s0, 0x7ffffe
	s_sub_i32 s0, 0, s0
	s_delay_alu instid0(SALU_CYCLE_1)
	s_and_b32 s1, s2, s0
	s_or_b32 s0, s2, s0
	s_lshl_b32 s3, s1, 11
	s_lshl_b32 s1, s1, 10
	s_add_i32 s3, s3, s17
	s_sub_i32 s14, s12, s1
	s_sub_i32 s1, s3, s1
	s_add_i32 s3, s3, s14
	s_min_u32 s26, s16, s1
	s_add_i32 s1, s1, s17
	s_waitcnt lgkmcnt(0)
	s_sub_i32 s14, s3, s24
	s_sub_i32 s3, s3, s25
	s_min_u32 s18, s16, s14
	s_addk_i32 s3, 0x400
	s_cmp_eq_u32 s0, -1
	s_mov_b32 s14, s24
	s_cselect_b32 s3, s1, s3
	s_cselect_b32 s17, s26, s25
	s_min_u32 s3, s3, s16
	s_lshl_b64 s[0:1], s[14:15], 3
	s_sub_i32 s17, s17, s24
	s_sub_i32 s24, s3, s18
	s_add_u32 s25, s4, s0
	s_addc_u32 s26, s5, s1
	s_lshl_b64 s[28:29], s[18:19], 3
	v_cmp_gt_u32_e32 vcc_lo, s17, v0
	s_add_u32 s1, s4, s28
	s_addc_u32 s4, s5, s29
	s_cmp_lt_u32 s13, s22
	s_cselect_b32 s0, 12, 18
	s_delay_alu instid0(SALU_CYCLE_1)
	s_add_u32 s20, s20, s0
	s_addc_u32 s21, s21, 0
	s_cmp_eq_u32 s2, s27
	s_mov_b32 s0, -1
	s_waitcnt vmcnt(0)
	v_lshrrev_b32_e32 v4, 16, v1
	v_and_b32_e32 v1, 0xffff, v1
	global_load_u16 v3, v2, s[20:21]
	v_mul_lo_u32 v1, v1, v4
	s_waitcnt vmcnt(0)
	s_delay_alu instid0(VALU_DEP_1) | instskip(NEXT) | instid1(VALU_DEP_1)
	v_mul_lo_u32 v1, v1, v3
	v_add_nc_u32_e32 v7, v1, v0
	s_cbranch_scc1 .LBB18_3
; %bb.2:
	v_subrev_nc_u32_e32 v1, s17, v0
	v_add_co_u32 v10, s0, s25, v9
	s_delay_alu instid0(VALU_DEP_1) | instskip(NEXT) | instid1(VALU_DEP_3)
	v_add_co_ci_u32_e64 v11, null, s26, 0, s0
	v_lshlrev_b64 v[3:4], 3, v[1:2]
	v_subrev_nc_u32_e32 v1, s17, v7
	s_add_i32 s3, s24, s17
	s_delay_alu instid0(VALU_DEP_2) | instskip(SKIP_1) | instid1(VALU_DEP_3)
	v_add_co_u32 v3, s0, s1, v3
	v_mov_b32_e32 v8, v2
	v_lshlrev_b64 v[1:2], 3, v[1:2]
	v_add_co_ci_u32_e64 v4, s0, s4, v4, s0
	s_delay_alu instid0(VALU_DEP_3) | instskip(NEXT) | instid1(VALU_DEP_1)
	v_lshlrev_b64 v[5:6], 3, v[7:8]
	v_add_co_u32 v5, s0, s25, v5
	s_delay_alu instid0(VALU_DEP_1)
	v_add_co_ci_u32_e64 v6, s0, s26, v6, s0
	v_add_co_u32 v8, s0, s1, v1
	v_cndmask_b32_e32 v1, v3, v10, vcc_lo
	v_add_co_ci_u32_e64 v12, s0, s4, v2, s0
	v_cmp_gt_u32_e64 s0, s17, v7
	v_cndmask_b32_e32 v2, v4, v11, vcc_lo
	s_delay_alu instid0(VALU_DEP_2) | instskip(SKIP_4) | instid1(SALU_CYCLE_1)
	v_cndmask_b32_e64 v4, v12, v6, s0
	v_cndmask_b32_e64 v3, v8, v5, s0
	global_load_b64 v[1:2], v[1:2], off
	global_load_b64 v[5:6], v[3:4], off
	s_mov_b32 s0, s15
	s_and_not1_b32 vcc_lo, exec_lo, s0
	s_cbranch_vccz .LBB18_4
	s_branch .LBB18_9
.LBB18_3:
                                        ; implicit-def: $vgpr5_vgpr6
                                        ; implicit-def: $sgpr3
                                        ; implicit-def: $vgpr1_vgpr2_vgpr3_vgpr4
	s_and_not1_b32 vcc_lo, exec_lo, s0
	s_cbranch_vccnz .LBB18_9
.LBB18_4:
	s_add_i32 s3, s24, s17
	s_mov_b32 s0, exec_lo
                                        ; implicit-def: $vgpr1_vgpr2
	v_cmpx_gt_u32_e64 s3, v0
	s_cbranch_execz .LBB18_6
; %bb.5:
	s_waitcnt vmcnt(1)
	v_subrev_nc_u32_e32 v1, s17, v0
	v_add_co_u32 v3, s2, s25, v9
	v_mov_b32_e32 v2, 0
	v_add_co_ci_u32_e64 v4, null, s26, 0, s2
	s_delay_alu instid0(VALU_DEP_2) | instskip(NEXT) | instid1(VALU_DEP_1)
	v_lshlrev_b64 v[1:2], 3, v[1:2]
	v_add_co_u32 v1, vcc_lo, s1, v1
	s_delay_alu instid0(VALU_DEP_2) | instskip(SKIP_1) | instid1(VALU_DEP_2)
	v_add_co_ci_u32_e32 v2, vcc_lo, s4, v2, vcc_lo
	v_cmp_gt_u32_e32 vcc_lo, s17, v0
	v_dual_cndmask_b32 v1, v1, v3 :: v_dual_cndmask_b32 v2, v2, v4
	global_load_b64 v[1:2], v[1:2], off
.LBB18_6:
	s_or_b32 exec_lo, exec_lo, s0
	s_delay_alu instid0(SALU_CYCLE_1)
	s_mov_b32 s2, exec_lo
	v_cmpx_gt_u32_e64 s3, v7
                                        ; implicit-def: $vgpr3_vgpr4_vgpr5_vgpr6
	s_cbranch_execz .LBB18_8
; %bb.7:
	v_mov_b32_e32 v8, 0
	s_delay_alu instid0(VALU_DEP_1) | instskip(SKIP_1) | instid1(VALU_DEP_1)
	v_lshlrev_b64 v[3:4], 3, v[7:8]
	s_waitcnt vmcnt(0)
	v_add_co_u32 v5, vcc_lo, s25, v3
	s_delay_alu instid0(VALU_DEP_2) | instskip(SKIP_2) | instid1(VALU_DEP_1)
	v_add_co_ci_u32_e32 v6, vcc_lo, s26, v4, vcc_lo
	v_cmp_gt_u32_e32 vcc_lo, s17, v7
	v_subrev_nc_u32_e32 v7, s17, v7
	v_lshlrev_b64 v[3:4], 3, v[7:8]
	s_delay_alu instid0(VALU_DEP_1) | instskip(NEXT) | instid1(VALU_DEP_1)
	v_add_co_u32 v3, s0, s1, v3
	v_add_co_ci_u32_e64 v4, s0, s4, v4, s0
	s_delay_alu instid0(VALU_DEP_1)
	v_dual_cndmask_b32 v3, v3, v5 :: v_dual_cndmask_b32 v4, v4, v6
	global_load_b64 v[5:6], v[3:4], off
.LBB18_8:
	s_or_b32 exec_lo, exec_lo, s2
.LBB18_9:
	v_lshlrev_b32_e32 v7, 1, v0
	s_mov_b32 s0, exec_lo
	s_waitcnt vmcnt(0)
	ds_store_2addr_stride64_b64 v9, v[1:2], v[5:6] offset1:8
	s_waitcnt lgkmcnt(0)
	s_barrier
	v_min_u32_e32 v3, s3, v7
	buffer_gl0_inv
	v_sub_nc_u32_e64 v8, v3, s24 clamp
	v_min_u32_e32 v4, s17, v3
	s_delay_alu instid0(VALU_DEP_1)
	v_cmpx_lt_u32_e64 v8, v4
	s_cbranch_execz .LBB18_13
; %bb.10:
	v_lshlrev_b32_e32 v10, 3, v3
	s_mov_b32 s1, 0
	s_delay_alu instid0(VALU_DEP_1)
	v_lshl_add_u32 v10, s17, 3, v10
	.p2align	6
.LBB18_11:                              ; =>This Inner Loop Header: Depth=1
	v_add_nc_u32_e32 v11, v4, v8
	s_delay_alu instid0(VALU_DEP_1) | instskip(NEXT) | instid1(VALU_DEP_1)
	v_lshrrev_b32_e32 v15, 1, v11
	v_not_b32_e32 v11, v15
	v_lshlrev_b32_e32 v12, 3, v15
	s_delay_alu instid0(VALU_DEP_2)
	v_lshl_add_u32 v13, v11, 3, v10
	ds_load_b64 v[11:12], v12
	ds_load_b64 v[13:14], v13
	s_waitcnt lgkmcnt(0)
	v_cmp_gt_i64_e32 vcc_lo, v[11:12], v[13:14]
	v_add_nc_u32_e32 v11, 1, v15
	v_cndmask_b32_e32 v4, v4, v15, vcc_lo
	s_delay_alu instid0(VALU_DEP_2) | instskip(NEXT) | instid1(VALU_DEP_1)
	v_cndmask_b32_e32 v8, v11, v8, vcc_lo
	v_cmp_ge_u32_e32 vcc_lo, v8, v4
	s_or_b32 s1, vcc_lo, s1
	s_delay_alu instid0(SALU_CYCLE_1)
	s_and_not1_b32 exec_lo, exec_lo, s1
	s_cbranch_execnz .LBB18_11
; %bb.12:
	s_or_b32 exec_lo, exec_lo, s1
.LBB18_13:
	s_delay_alu instid0(SALU_CYCLE_1) | instskip(SKIP_2) | instid1(VALU_DEP_2)
	s_or_b32 exec_lo, exec_lo, s0
	v_sub_nc_u32_e32 v3, v3, v8
	v_cmp_ge_u32_e32 vcc_lo, s17, v8
                                        ; implicit-def: $vgpr10
                                        ; implicit-def: $vgpr11
	v_add_nc_u32_e32 v12, s17, v3
	s_delay_alu instid0(VALU_DEP_1) | instskip(NEXT) | instid1(VALU_DEP_1)
	v_cmp_ge_u32_e64 s0, s3, v12
	s_or_b32 s0, vcc_lo, s0
	s_delay_alu instid0(SALU_CYCLE_1)
	s_and_saveexec_b32 s4, s0
	s_cbranch_execz .LBB18_19
; %bb.14:
	v_cmp_gt_u32_e32 vcc_lo, s17, v8
                                        ; implicit-def: $vgpr1_vgpr2
	s_and_saveexec_b32 s0, vcc_lo
	s_cbranch_execz .LBB18_16
; %bb.15:
	v_lshlrev_b32_e32 v1, 3, v8
	ds_load_b64 v[1:2], v1
.LBB18_16:
	s_or_b32 exec_lo, exec_lo, s0
	v_cmp_le_u32_e64 s0, s3, v12
	s_mov_b32 s2, exec_lo
                                        ; implicit-def: $vgpr3_vgpr4
	v_cmpx_gt_u32_e64 s3, v12
	s_cbranch_execz .LBB18_18
; %bb.17:
	v_lshlrev_b32_e32 v3, 3, v12
	ds_load_b64 v[3:4], v3
.LBB18_18:
	s_or_b32 exec_lo, exec_lo, s2
	s_waitcnt lgkmcnt(0)
	v_cmp_le_i64_e64 s1, v[1:2], v[3:4]
	s_delay_alu instid0(VALU_DEP_1) | instskip(NEXT) | instid1(SALU_CYCLE_1)
	s_and_b32 s1, vcc_lo, s1
	s_or_b32 vcc_lo, s0, s1
	v_cndmask_b32_e32 v11, v12, v8, vcc_lo
	s_delay_alu instid0(VALU_DEP_1) | instskip(NEXT) | instid1(VALU_DEP_1)
	v_dual_mov_b32 v5, s17 :: v_dual_add_nc_u32 v10, 1, v11
	v_cndmask_b32_e32 v5, s3, v5, vcc_lo
	s_delay_alu instid0(VALU_DEP_1) | instskip(NEXT) | instid1(VALU_DEP_1)
	v_dual_cndmask_b32 v8, v8, v10 :: v_dual_add_nc_u32 v5, -1, v5
	v_cmp_gt_u32_e64 s1, s17, v8
	s_delay_alu instid0(VALU_DEP_2) | instskip(NEXT) | instid1(VALU_DEP_1)
	v_min_u32_e32 v5, v10, v5
	v_dual_cndmask_b32 v10, v10, v12 :: v_dual_lshlrev_b32 v5, 3, v5
	s_delay_alu instid0(VALU_DEP_1)
	v_cmp_le_u32_e64 s2, s3, v10
	ds_load_b64 v[5:6], v5
	s_waitcnt lgkmcnt(0)
	v_dual_cndmask_b32 v14, v6, v4 :: v_dual_cndmask_b32 v13, v5, v3
	v_dual_cndmask_b32 v6, v2, v6 :: v_dual_cndmask_b32 v5, v1, v5
	;; [unrolled: 1-line block ×3, first 2 shown]
	s_delay_alu instid0(VALU_DEP_2) | instskip(NEXT) | instid1(VALU_DEP_1)
	v_cmp_le_i64_e64 s0, v[5:6], v[13:14]
	s_and_b32 s0, s1, s0
	s_delay_alu instid0(SALU_CYCLE_1)
	s_or_b32 vcc_lo, s2, s0
	v_cndmask_b32_e32 v10, v10, v8, vcc_lo
	v_dual_cndmask_b32 v6, v14, v6 :: v_dual_cndmask_b32 v5, v13, v5
.LBB18_19:
	s_or_b32 exec_lo, exec_lo, s4
	s_add_u32 s4, s8, s14
	v_cmp_gt_u32_e64 s1, s17, v0
	v_cmp_le_u32_e64 s0, s17, v0
	v_or_b32_e32 v8, 0x200, v0
	s_addc_u32 s5, s9, 0
	s_add_u32 s8, s8, s18
	s_mov_b32 s2, 0
	s_addc_u32 s9, s9, 0
	s_and_not1_b32 vcc_lo, exec_lo, s23
	s_barrier
	buffer_gl0_inv
	s_cbranch_vccnz .LBB18_21
; %bb.20:
	v_subrev_nc_u32_e32 v3, s17, v0
	v_add_co_u32 v13, s2, s4, v0
	s_delay_alu instid0(VALU_DEP_1) | instskip(NEXT) | instid1(VALU_DEP_3)
	v_add_co_ci_u32_e64 v14, null, s5, 0, s2
	v_add_co_u32 v3, s2, s8, v3
	s_delay_alu instid0(VALU_DEP_1) | instskip(SKIP_1) | instid1(VALU_DEP_3)
	v_add_co_ci_u32_e64 v4, null, s9, 0, s2
	v_or_b32_e32 v12, 0x200, v0
	v_cndmask_b32_e64 v3, v3, v13, s1
	v_add_co_u32 v13, vcc_lo, 0x200, v13
	s_delay_alu instid0(VALU_DEP_4)
	v_cndmask_b32_e64 v4, v4, v14, s1
	s_mov_b32 s2, -1
	global_load_u8 v15, v[3:4], off
	v_subrev_nc_u32_e32 v3, s17, v12
	v_add_co_ci_u32_e32 v4, vcc_lo, 0, v14, vcc_lo
	v_cmp_gt_u32_e32 vcc_lo, s17, v12
	s_delay_alu instid0(VALU_DEP_3) | instskip(NEXT) | instid1(VALU_DEP_1)
	v_add_co_u32 v3, s1, s8, v3
	v_add_co_ci_u32_e64 v14, null, s9, 0, s1
	s_delay_alu instid0(VALU_DEP_1)
	v_dual_cndmask_b32 v3, v3, v13 :: v_dual_cndmask_b32 v4, v14, v4
	s_waitcnt vmcnt(0)
	ds_store_b8 v0, v15
	s_cbranch_execz .LBB18_22
	s_branch .LBB18_33
.LBB18_21:
                                        ; implicit-def: $vgpr12
                                        ; implicit-def: $vgpr3_vgpr4
.LBB18_22:
	s_mov_b32 s1, 0
                                        ; implicit-def: $vgpr3_vgpr4
	s_and_saveexec_b32 s13, s0
	s_delay_alu instid0(SALU_CYCLE_1)
	s_xor_b32 s0, exec_lo, s13
	s_cbranch_execnz .LBB18_54
; %bb.23:
	s_and_not1_saveexec_b32 s0, s0
	s_cbranch_execnz .LBB18_57
.LBB18_24:
	s_or_b32 exec_lo, exec_lo, s0
	s_and_saveexec_b32 s0, s1
	s_cbranch_execz .LBB18_26
.LBB18_25:
	global_load_u8 v3, v[3:4], off
	s_waitcnt vmcnt(0)
	ds_store_b8 v0, v3
.LBB18_26:
	s_or_b32 exec_lo, exec_lo, s0
	s_delay_alu instid0(SALU_CYCLE_1)
	s_mov_b32 s0, exec_lo
                                        ; implicit-def: $vgpr12
                                        ; implicit-def: $vgpr3_vgpr4
	v_cmpx_le_u32_e64 s17, v8
	s_xor_b32 s0, exec_lo, s0
	s_cbranch_execz .LBB18_30
; %bb.27:
	v_subrev_nc_u32_e32 v13, s17, v8
	s_mov_b32 s1, s2
	s_mov_b32 s13, exec_lo
                                        ; implicit-def: $vgpr12
                                        ; implicit-def: $vgpr3_vgpr4
	s_delay_alu instid0(VALU_DEP_1)
	v_cmpx_gt_u32_e64 s24, v13
; %bb.28:
	v_add_co_u32 v3, s1, s8, v13
	v_or_b32_e32 v12, 0x200, v0
	v_add_co_ci_u32_e64 v4, null, s9, 0, s1
	s_or_b32 s1, s2, exec_lo
; %bb.29:
	s_or_b32 exec_lo, exec_lo, s13
	s_delay_alu instid0(SALU_CYCLE_1) | instskip(SKIP_1) | instid1(SALU_CYCLE_1)
	s_and_not1_b32 s2, s2, exec_lo
	s_and_b32 s1, s1, exec_lo
	s_or_b32 s2, s2, s1
.LBB18_30:
	s_and_not1_saveexec_b32 s0, s0
; %bb.31:
	v_add_co_u32 v3, s1, s4, v0
	s_delay_alu instid0(VALU_DEP_1) | instskip(SKIP_1) | instid1(VALU_DEP_3)
	v_add_co_ci_u32_e64 v4, null, s5, 0, s1
	v_mov_b32_e32 v12, v8
	v_add_co_u32 v3, vcc_lo, 0x200, v3
	s_delay_alu instid0(VALU_DEP_3)
	v_add_co_ci_u32_e32 v4, vcc_lo, 0, v4, vcc_lo
	s_or_b32 s2, s2, exec_lo
; %bb.32:
	s_or_b32 exec_lo, exec_lo, s0
.LBB18_33:
	s_and_saveexec_b32 s0, s2
	s_cbranch_execz .LBB18_35
; %bb.34:
	global_load_u8 v3, v[3:4], off
	s_waitcnt vmcnt(0)
	ds_store_b8 v12, v3
.LBB18_35:
	s_or_b32 exec_lo, exec_lo, s0
	v_add_nc_u32_e32 v12, s12, v7
	s_and_not1_b32 vcc_lo, exec_lo, s23
	s_waitcnt lgkmcnt(0)
	s_barrier
	buffer_gl0_inv
	s_cbranch_vccnz .LBB18_37
; %bb.36:
	ds_load_u8 v3, v11
	v_mov_b32_e32 v4, 0
	s_mov_b32 s0, -1
	s_waitcnt lgkmcnt(0)
	global_store_b8 v12, v3, s[10:11]
	s_cbranch_execz .LBB18_38
	s_branch .LBB18_43
.LBB18_37:
	s_mov_b32 s0, 0
                                        ; implicit-def: $vgpr3_vgpr4
.LBB18_38:
	s_mov_b32 s1, exec_lo
	v_cmpx_gt_u32_e64 s3, v7
	s_cbranch_execz .LBB18_40
; %bb.39:
	ds_load_u8 v3, v11
	s_waitcnt lgkmcnt(0)
	global_store_b8 v12, v3, s[10:11]
.LBB18_40:
	s_or_b32 exec_lo, exec_lo, s1
	v_or_b32_e32 v3, 1, v7
	s_mov_b32 s1, exec_lo
	s_delay_alu instid0(VALU_DEP_1)
	v_cmpx_gt_u32_e64 s3, v3
                                        ; implicit-def: $vgpr3_vgpr4
; %bb.41:
	v_mov_b32_e32 v4, 0
	s_or_b32 s0, s0, exec_lo
; %bb.42:
	s_or_b32 exec_lo, exec_lo, s1
.LBB18_43:
	s_and_saveexec_b32 s1, s0
	s_cbranch_execz .LBB18_45
; %bb.44:
	ds_load_u8 v10, v10
	v_add_co_u32 v3, vcc_lo, s10, v12
	v_add_co_ci_u32_e32 v4, vcc_lo, s11, v4, vcc_lo
	s_waitcnt lgkmcnt(0)
	global_store_b8 v[3:4], v10, off offset:1
.LBB18_45:
	s_or_b32 exec_lo, exec_lo, s1
	v_lshrrev_b32_e32 v3, 1, v0
	v_lshrrev_b32_e32 v4, 2, v0
	;; [unrolled: 1-line block ×3, first 2 shown]
	s_mov_b32 s13, 0
	s_waitcnt_vscnt null, 0x0
	v_and_b32_e32 v3, 0xf8, v3
	s_lshl_b64 s[0:1], s[12:13], 3
	v_and_b32_e32 v4, 0x78, v4
	s_add_u32 s0, s6, s0
	s_barrier
	v_lshl_add_u32 v3, v7, 3, v3
	v_and_b32_e32 v7, 0xf8, v10
	buffer_gl0_inv
	s_barrier
	buffer_gl0_inv
	s_addc_u32 s1, s7, s1
	ds_store_2addr_b64 v3, v[1:2], v[5:6] offset1:1
	v_add_co_u32 v1, s0, s0, v9
	v_add_nc_u32_e32 v5, v9, v4
	v_add_nc_u32_e32 v6, v9, v7
	v_add_co_ci_u32_e64 v2, null, s1, 0, s0
	s_and_b32 vcc_lo, exec_lo, s23
	s_waitcnt lgkmcnt(0)
	s_cbranch_vccz .LBB18_47
; %bb.46:
	s_barrier
	buffer_gl0_inv
	ds_load_b64 v[9:10], v5
	ds_load_b64 v[3:4], v6 offset:4096
	s_mov_b32 s13, -1
	s_waitcnt lgkmcnt(1)
	global_store_b64 v[1:2], v[9:10], off
	s_cbranch_execz .LBB18_48
	s_branch .LBB18_51
.LBB18_47:
                                        ; implicit-def: $vgpr3_vgpr4
.LBB18_48:
	s_waitcnt lgkmcnt(0)
	s_waitcnt_vscnt null, 0x0
	s_barrier
	buffer_gl0_inv
	ds_load_b64 v[3:4], v6 offset:4096
	s_sub_i32 s0, s16, s12
	s_mov_b32 s1, exec_lo
	v_cmpx_gt_u32_e64 s0, v0
	s_cbranch_execz .LBB18_50
; %bb.49:
	ds_load_b64 v[5:6], v5
	s_waitcnt lgkmcnt(0)
	global_store_b64 v[1:2], v[5:6], off
.LBB18_50:
	s_or_b32 exec_lo, exec_lo, s1
	v_cmp_gt_u32_e64 s13, s0, v8
.LBB18_51:
	s_delay_alu instid0(VALU_DEP_1)
	s_and_saveexec_b32 s0, s13
	s_cbranch_execz .LBB18_53
; %bb.52:
	v_add_co_u32 v0, vcc_lo, 0x1000, v1
	v_add_co_ci_u32_e32 v1, vcc_lo, 0, v2, vcc_lo
	s_waitcnt lgkmcnt(0)
	global_store_b64 v[0:1], v[3:4], off
.LBB18_53:
	s_nop 0
	s_sendmsg sendmsg(MSG_DEALLOC_VGPRS)
	s_endpgm
.LBB18_54:
	v_subrev_nc_u32_e32 v12, s17, v0
	s_mov_b32 s13, exec_lo
                                        ; implicit-def: $vgpr3_vgpr4
	s_delay_alu instid0(VALU_DEP_1)
	v_cmpx_gt_u32_e64 s24, v12
	s_xor_b32 s13, exec_lo, s13
; %bb.55:
	v_add_co_u32 v3, s14, s8, v12
	s_mov_b32 s1, exec_lo
	v_add_co_ci_u32_e64 v4, null, s9, 0, s14
; %bb.56:
	s_or_b32 exec_lo, exec_lo, s13
	s_delay_alu instid0(SALU_CYCLE_1)
	s_and_b32 s1, s1, exec_lo
	s_and_not1_saveexec_b32 s0, s0
	s_cbranch_execz .LBB18_24
.LBB18_57:
	v_add_co_u32 v3, s13, s4, v0
	s_delay_alu instid0(VALU_DEP_1)
	v_add_co_ci_u32_e64 v4, null, s5, 0, s13
	s_or_b32 s1, s1, exec_lo
	s_or_b32 exec_lo, exec_lo, s0
	s_and_saveexec_b32 s0, s1
	s_cbranch_execnz .LBB18_25
	s_branch .LBB18_26
	.section	.rodata,"a",@progbits
	.p2align	6, 0x0
	.amdhsa_kernel _ZN7rocprim17ROCPRIM_304000_NS6detail35device_block_merge_mergepath_kernelINS1_37wrapped_merge_sort_block_merge_configINS0_14default_configElN2at4cuda3cub6detail10OpaqueTypeILi1EEEEEPlSC_PSA_SD_jNS1_19radix_merge_compareILb0ELb0ElNS0_19identity_decomposerEEEEEvT0_T1_T2_T3_T4_SL_jT5_PKSL_NS1_7vsmem_tE
		.amdhsa_group_segment_fixed_size 8448
		.amdhsa_private_segment_fixed_size 0
		.amdhsa_kernarg_size 320
		.amdhsa_user_sgpr_count 13
		.amdhsa_user_sgpr_dispatch_ptr 0
		.amdhsa_user_sgpr_queue_ptr 0
		.amdhsa_user_sgpr_kernarg_segment_ptr 1
		.amdhsa_user_sgpr_dispatch_id 0
		.amdhsa_user_sgpr_private_segment_size 0
		.amdhsa_wavefront_size32 1
		.amdhsa_uses_dynamic_stack 0
		.amdhsa_enable_private_segment 0
		.amdhsa_system_sgpr_workgroup_id_x 1
		.amdhsa_system_sgpr_workgroup_id_y 1
		.amdhsa_system_sgpr_workgroup_id_z 1
		.amdhsa_system_sgpr_workgroup_info 0
		.amdhsa_system_vgpr_workitem_id 0
		.amdhsa_next_free_vgpr 16
		.amdhsa_next_free_sgpr 30
		.amdhsa_reserve_vcc 1
		.amdhsa_float_round_mode_32 0
		.amdhsa_float_round_mode_16_64 0
		.amdhsa_float_denorm_mode_32 3
		.amdhsa_float_denorm_mode_16_64 3
		.amdhsa_dx10_clamp 1
		.amdhsa_ieee_mode 1
		.amdhsa_fp16_overflow 0
		.amdhsa_workgroup_processor_mode 1
		.amdhsa_memory_ordered 1
		.amdhsa_forward_progress 0
		.amdhsa_shared_vgpr_count 0
		.amdhsa_exception_fp_ieee_invalid_op 0
		.amdhsa_exception_fp_denorm_src 0
		.amdhsa_exception_fp_ieee_div_zero 0
		.amdhsa_exception_fp_ieee_overflow 0
		.amdhsa_exception_fp_ieee_underflow 0
		.amdhsa_exception_fp_ieee_inexact 0
		.amdhsa_exception_int_div_zero 0
	.end_amdhsa_kernel
	.section	.text._ZN7rocprim17ROCPRIM_304000_NS6detail35device_block_merge_mergepath_kernelINS1_37wrapped_merge_sort_block_merge_configINS0_14default_configElN2at4cuda3cub6detail10OpaqueTypeILi1EEEEEPlSC_PSA_SD_jNS1_19radix_merge_compareILb0ELb0ElNS0_19identity_decomposerEEEEEvT0_T1_T2_T3_T4_SL_jT5_PKSL_NS1_7vsmem_tE,"axG",@progbits,_ZN7rocprim17ROCPRIM_304000_NS6detail35device_block_merge_mergepath_kernelINS1_37wrapped_merge_sort_block_merge_configINS0_14default_configElN2at4cuda3cub6detail10OpaqueTypeILi1EEEEEPlSC_PSA_SD_jNS1_19radix_merge_compareILb0ELb0ElNS0_19identity_decomposerEEEEEvT0_T1_T2_T3_T4_SL_jT5_PKSL_NS1_7vsmem_tE,comdat
.Lfunc_end18:
	.size	_ZN7rocprim17ROCPRIM_304000_NS6detail35device_block_merge_mergepath_kernelINS1_37wrapped_merge_sort_block_merge_configINS0_14default_configElN2at4cuda3cub6detail10OpaqueTypeILi1EEEEEPlSC_PSA_SD_jNS1_19radix_merge_compareILb0ELb0ElNS0_19identity_decomposerEEEEEvT0_T1_T2_T3_T4_SL_jT5_PKSL_NS1_7vsmem_tE, .Lfunc_end18-_ZN7rocprim17ROCPRIM_304000_NS6detail35device_block_merge_mergepath_kernelINS1_37wrapped_merge_sort_block_merge_configINS0_14default_configElN2at4cuda3cub6detail10OpaqueTypeILi1EEEEEPlSC_PSA_SD_jNS1_19radix_merge_compareILb0ELb0ElNS0_19identity_decomposerEEEEEvT0_T1_T2_T3_T4_SL_jT5_PKSL_NS1_7vsmem_tE
                                        ; -- End function
	.section	.AMDGPU.csdata,"",@progbits
; Kernel info:
; codeLenInByte = 2328
; NumSgprs: 32
; NumVgprs: 16
; ScratchSize: 0
; MemoryBound: 0
; FloatMode: 240
; IeeeMode: 1
; LDSByteSize: 8448 bytes/workgroup (compile time only)
; SGPRBlocks: 3
; VGPRBlocks: 1
; NumSGPRsForWavesPerEU: 32
; NumVGPRsForWavesPerEU: 16
; Occupancy: 16
; WaveLimiterHint : 1
; COMPUTE_PGM_RSRC2:SCRATCH_EN: 0
; COMPUTE_PGM_RSRC2:USER_SGPR: 13
; COMPUTE_PGM_RSRC2:TRAP_HANDLER: 0
; COMPUTE_PGM_RSRC2:TGID_X_EN: 1
; COMPUTE_PGM_RSRC2:TGID_Y_EN: 1
; COMPUTE_PGM_RSRC2:TGID_Z_EN: 1
; COMPUTE_PGM_RSRC2:TIDIG_COMP_CNT: 0
	.section	.text._ZN7rocprim17ROCPRIM_304000_NS6detail33device_block_merge_oddeven_kernelINS1_37wrapped_merge_sort_block_merge_configINS0_14default_configElN2at4cuda3cub6detail10OpaqueTypeILi1EEEEEPlSC_PSA_SD_jNS1_19radix_merge_compareILb0ELb0ElNS0_19identity_decomposerEEEEEvT0_T1_T2_T3_T4_SL_T5_,"axG",@progbits,_ZN7rocprim17ROCPRIM_304000_NS6detail33device_block_merge_oddeven_kernelINS1_37wrapped_merge_sort_block_merge_configINS0_14default_configElN2at4cuda3cub6detail10OpaqueTypeILi1EEEEEPlSC_PSA_SD_jNS1_19radix_merge_compareILb0ELb0ElNS0_19identity_decomposerEEEEEvT0_T1_T2_T3_T4_SL_T5_,comdat
	.protected	_ZN7rocprim17ROCPRIM_304000_NS6detail33device_block_merge_oddeven_kernelINS1_37wrapped_merge_sort_block_merge_configINS0_14default_configElN2at4cuda3cub6detail10OpaqueTypeILi1EEEEEPlSC_PSA_SD_jNS1_19radix_merge_compareILb0ELb0ElNS0_19identity_decomposerEEEEEvT0_T1_T2_T3_T4_SL_T5_ ; -- Begin function _ZN7rocprim17ROCPRIM_304000_NS6detail33device_block_merge_oddeven_kernelINS1_37wrapped_merge_sort_block_merge_configINS0_14default_configElN2at4cuda3cub6detail10OpaqueTypeILi1EEEEEPlSC_PSA_SD_jNS1_19radix_merge_compareILb0ELb0ElNS0_19identity_decomposerEEEEEvT0_T1_T2_T3_T4_SL_T5_
	.globl	_ZN7rocprim17ROCPRIM_304000_NS6detail33device_block_merge_oddeven_kernelINS1_37wrapped_merge_sort_block_merge_configINS0_14default_configElN2at4cuda3cub6detail10OpaqueTypeILi1EEEEEPlSC_PSA_SD_jNS1_19radix_merge_compareILb0ELb0ElNS0_19identity_decomposerEEEEEvT0_T1_T2_T3_T4_SL_T5_
	.p2align	8
	.type	_ZN7rocprim17ROCPRIM_304000_NS6detail33device_block_merge_oddeven_kernelINS1_37wrapped_merge_sort_block_merge_configINS0_14default_configElN2at4cuda3cub6detail10OpaqueTypeILi1EEEEEPlSC_PSA_SD_jNS1_19radix_merge_compareILb0ELb0ElNS0_19identity_decomposerEEEEEvT0_T1_T2_T3_T4_SL_T5_,@function
_ZN7rocprim17ROCPRIM_304000_NS6detail33device_block_merge_oddeven_kernelINS1_37wrapped_merge_sort_block_merge_configINS0_14default_configElN2at4cuda3cub6detail10OpaqueTypeILi1EEEEEPlSC_PSA_SD_jNS1_19radix_merge_compareILb0ELb0ElNS0_19identity_decomposerEEEEEvT0_T1_T2_T3_T4_SL_T5_: ; @_ZN7rocprim17ROCPRIM_304000_NS6detail33device_block_merge_oddeven_kernelINS1_37wrapped_merge_sort_block_merge_configINS0_14default_configElN2at4cuda3cub6detail10OpaqueTypeILi1EEEEEPlSC_PSA_SD_jNS1_19radix_merge_compareILb0ELb0ElNS0_19identity_decomposerEEEEEvT0_T1_T2_T3_T4_SL_T5_
; %bb.0:
	s_load_b64 s[16:17], s[0:1], 0x20
	s_waitcnt lgkmcnt(0)
	s_lshr_b32 s2, s16, 8
	s_delay_alu instid0(SALU_CYCLE_1) | instskip(SKIP_4) | instid1(SALU_CYCLE_1)
	s_cmp_lg_u32 s15, s2
	s_cselect_b32 s4, -1, 0
	s_cmp_eq_u32 s15, s2
	s_cselect_b32 s3, -1, 0
	s_lshl_b32 s12, s15, 8
	s_sub_i32 s2, s16, s12
	s_delay_alu instid0(SALU_CYCLE_1) | instskip(NEXT) | instid1(VALU_DEP_1)
	v_cmp_gt_u32_e64 s2, s2, v0
	s_or_b32 s4, s4, s2
	s_delay_alu instid0(SALU_CYCLE_1)
	s_and_saveexec_b32 s5, s4
	s_cbranch_execz .LBB19_26
; %bb.1:
	s_load_b256 s[4:11], s[0:1], 0x0
	s_mov_b32 s13, 0
	v_lshlrev_b32_e32 v1, 3, v0
	s_lshl_b64 s[0:1], s[12:13], 3
	v_add_nc_u32_e32 v5, s12, v0
	s_waitcnt lgkmcnt(0)
	s_add_u32 s0, s4, s0
	s_addc_u32 s1, s5, s1
	s_add_u32 s8, s8, s12
	s_addc_u32 s9, s9, 0
	global_load_u8 v7, v0, s[8:9]
	global_load_b64 v[1:2], v1, s[0:1]
	s_lshr_b32 s0, s17, 8
	s_delay_alu instid0(SALU_CYCLE_1) | instskip(NEXT) | instid1(SALU_CYCLE_1)
	s_sub_i32 s1, 0, s0
	s_and_b32 s1, s15, s1
	s_delay_alu instid0(SALU_CYCLE_1) | instskip(SKIP_4) | instid1(SALU_CYCLE_1)
	s_and_b32 s0, s1, s0
	s_lshl_b32 s9, s1, 8
	s_sub_i32 s1, 0, s17
	s_cmp_eq_u32 s0, 0
	s_cselect_b32 s0, -1, 0
	s_and_b32 s8, s0, exec_lo
	s_cselect_b32 s1, s17, s1
	s_delay_alu instid0(SALU_CYCLE_1) | instskip(NEXT) | instid1(SALU_CYCLE_1)
	s_add_i32 s1, s1, s9
	s_cmp_lt_u32 s1, s16
	s_cbranch_scc1 .LBB19_6
; %bb.2:
	s_and_b32 vcc_lo, exec_lo, s3
	s_cbranch_vccz .LBB19_7
; %bb.3:
	s_mov_b32 s8, 0
	s_mov_b32 s12, exec_lo
                                        ; implicit-def: $vgpr3_vgpr4
	v_cmpx_gt_u32_e64 s16, v5
	s_cbranch_execz .LBB19_5
; %bb.4:
	v_mov_b32_e32 v6, 0
	s_mov_b32 s13, exec_lo
	s_delay_alu instid0(VALU_DEP_1) | instskip(NEXT) | instid1(VALU_DEP_1)
	v_lshlrev_b64 v[3:4], 3, v[5:6]
	v_add_co_u32 v8, vcc_lo, s6, v3
	v_add_co_u32 v3, s14, s10, v5
	s_delay_alu instid0(VALU_DEP_3)
	v_add_co_ci_u32_e32 v9, vcc_lo, s7, v4, vcc_lo
	v_add_co_ci_u32_e64 v4, null, s11, 0, s14
	s_waitcnt vmcnt(0)
	global_store_b64 v[8:9], v[1:2], off
.LBB19_5:
	s_or_b32 exec_lo, exec_lo, s12
	s_delay_alu instid0(SALU_CYCLE_1)
	s_and_b32 vcc_lo, exec_lo, s8
	s_cbranch_vccnz .LBB19_8
	s_branch .LBB19_9
.LBB19_6:
                                        ; implicit-def: $vgpr3_vgpr4
	s_cbranch_execnz .LBB19_10
	s_branch .LBB19_24
.LBB19_7:
                                        ; implicit-def: $vgpr3_vgpr4
	s_cbranch_execz .LBB19_9
.LBB19_8:
	v_mov_b32_e32 v6, 0
	s_or_b32 s13, s13, exec_lo
	s_delay_alu instid0(VALU_DEP_1) | instskip(NEXT) | instid1(VALU_DEP_1)
	v_lshlrev_b64 v[3:4], 3, v[5:6]
	v_add_co_u32 v8, vcc_lo, s6, v3
	v_add_co_u32 v3, s8, s10, v5
	s_delay_alu instid0(VALU_DEP_3)
	v_add_co_ci_u32_e32 v9, vcc_lo, s7, v4, vcc_lo
	v_add_co_ci_u32_e64 v4, null, s11, 0, s8
	s_waitcnt vmcnt(0)
	global_store_b64 v[8:9], v[1:2], off
.LBB19_9:
	s_branch .LBB19_24
.LBB19_10:
	s_min_u32 s8, s1, s16
	s_and_b32 vcc_lo, exec_lo, s3
	s_add_i32 s12, s9, s8
	s_min_u32 s9, s9, s8
	v_subrev_nc_u32_e32 v0, s12, v5
	s_add_i32 s12, s8, s17
	s_delay_alu instid0(SALU_CYCLE_1) | instskip(NEXT) | instid1(VALU_DEP_1)
	s_min_u32 s3, s12, s16
	v_add_nc_u32_e32 v0, s9, v0
	s_cbranch_vccz .LBB19_18
; %bb.11:
                                        ; implicit-def: $vgpr3_vgpr4
	s_and_saveexec_b32 s9, s2
	s_cbranch_execz .LBB19_17
; %bb.12:
	v_mov_b32_e32 v5, s8
	s_cmp_ge_u32 s1, s3
	s_cbranch_scc1 .LBB19_16
; %bb.13:
	v_dual_mov_b32 v6, s3 :: v_dual_mov_b32 v5, s8
	v_mov_b32_e32 v4, 0
	s_mov_b32 s2, 0
	.p2align	6
.LBB19_14:                              ; =>This Inner Loop Header: Depth=1
	s_delay_alu instid0(VALU_DEP_2) | instskip(NEXT) | instid1(VALU_DEP_1)
	v_add_nc_u32_e32 v3, v5, v6
	v_lshrrev_b32_e32 v3, 1, v3
	s_delay_alu instid0(VALU_DEP_1) | instskip(NEXT) | instid1(VALU_DEP_1)
	v_lshlrev_b64 v[8:9], 3, v[3:4]
	v_add_co_u32 v8, vcc_lo, s4, v8
	s_delay_alu instid0(VALU_DEP_2)
	v_add_co_ci_u32_e32 v9, vcc_lo, s5, v9, vcc_lo
	global_load_b64 v[8:9], v[8:9], off
	s_waitcnt vmcnt(0)
	v_cmp_gt_i64_e32 vcc_lo, v[1:2], v[8:9]
	v_cndmask_b32_e64 v10, 0, 1, vcc_lo
	v_cmp_le_i64_e32 vcc_lo, v[8:9], v[1:2]
	v_add_nc_u32_e32 v9, 1, v3
	v_cndmask_b32_e64 v8, 0, 1, vcc_lo
	s_delay_alu instid0(VALU_DEP_1) | instskip(NEXT) | instid1(VALU_DEP_1)
	v_cndmask_b32_e64 v8, v8, v10, s0
	v_and_b32_e32 v8, 1, v8
	s_delay_alu instid0(VALU_DEP_1) | instskip(SKIP_1) | instid1(VALU_DEP_1)
	v_cmp_eq_u32_e32 vcc_lo, 1, v8
	v_dual_cndmask_b32 v6, v3, v6 :: v_dual_cndmask_b32 v5, v5, v9
	v_cmp_ge_u32_e32 vcc_lo, v5, v6
	s_or_b32 s2, vcc_lo, s2
	s_delay_alu instid0(SALU_CYCLE_1)
	s_and_not1_b32 exec_lo, exec_lo, s2
	s_cbranch_execnz .LBB19_14
; %bb.15:
	s_or_b32 exec_lo, exec_lo, s2
.LBB19_16:
	s_delay_alu instid0(VALU_DEP_1) | instskip(SKIP_1) | instid1(VALU_DEP_1)
	v_dual_mov_b32 v4, 0 :: v_dual_add_nc_u32 v3, v5, v0
	s_or_b32 s13, s13, exec_lo
	v_lshlrev_b64 v[4:5], 3, v[3:4]
	v_add_co_u32 v3, s2, s10, v3
	s_delay_alu instid0(VALU_DEP_2) | instskip(NEXT) | instid1(VALU_DEP_3)
	v_add_co_u32 v8, vcc_lo, s6, v4
	v_add_co_ci_u32_e32 v9, vcc_lo, s7, v5, vcc_lo
	v_add_co_ci_u32_e64 v4, null, s11, 0, s2
	s_waitcnt vmcnt(0)
	global_store_b64 v[8:9], v[1:2], off
.LBB19_17:
	s_or_b32 exec_lo, exec_lo, s9
	s_branch .LBB19_24
.LBB19_18:
                                        ; implicit-def: $vgpr3_vgpr4
	s_cbranch_execz .LBB19_24
; %bb.19:
	v_mov_b32_e32 v5, s8
	s_cmp_ge_u32 s1, s3
	s_cbranch_scc1 .LBB19_23
; %bb.20:
	v_dual_mov_b32 v6, s3 :: v_dual_mov_b32 v5, s8
	v_mov_b32_e32 v4, 0
	s_mov_b32 s1, 0
	.p2align	6
.LBB19_21:                              ; =>This Inner Loop Header: Depth=1
	s_delay_alu instid0(VALU_DEP_2) | instskip(NEXT) | instid1(VALU_DEP_1)
	v_add_nc_u32_e32 v3, v5, v6
	v_lshrrev_b32_e32 v3, 1, v3
	s_delay_alu instid0(VALU_DEP_1) | instskip(NEXT) | instid1(VALU_DEP_1)
	v_lshlrev_b64 v[8:9], 3, v[3:4]
	v_add_co_u32 v8, vcc_lo, s4, v8
	s_delay_alu instid0(VALU_DEP_2)
	v_add_co_ci_u32_e32 v9, vcc_lo, s5, v9, vcc_lo
	global_load_b64 v[8:9], v[8:9], off
	s_waitcnt vmcnt(0)
	v_cmp_gt_i64_e32 vcc_lo, v[1:2], v[8:9]
	v_cndmask_b32_e64 v10, 0, 1, vcc_lo
	v_cmp_le_i64_e32 vcc_lo, v[8:9], v[1:2]
	v_add_nc_u32_e32 v9, 1, v3
	v_cndmask_b32_e64 v8, 0, 1, vcc_lo
	s_delay_alu instid0(VALU_DEP_1) | instskip(NEXT) | instid1(VALU_DEP_1)
	v_cndmask_b32_e64 v8, v8, v10, s0
	v_and_b32_e32 v8, 1, v8
	s_delay_alu instid0(VALU_DEP_1) | instskip(SKIP_1) | instid1(VALU_DEP_1)
	v_cmp_eq_u32_e32 vcc_lo, 1, v8
	v_dual_cndmask_b32 v6, v3, v6 :: v_dual_cndmask_b32 v5, v5, v9
	v_cmp_ge_u32_e32 vcc_lo, v5, v6
	s_or_b32 s1, vcc_lo, s1
	s_delay_alu instid0(SALU_CYCLE_1)
	s_and_not1_b32 exec_lo, exec_lo, s1
	s_cbranch_execnz .LBB19_21
; %bb.22:
	s_or_b32 exec_lo, exec_lo, s1
.LBB19_23:
	s_delay_alu instid0(VALU_DEP_1) | instskip(SKIP_1) | instid1(VALU_DEP_1)
	v_dual_mov_b32 v4, 0 :: v_dual_add_nc_u32 v3, v5, v0
	s_mov_b32 s13, -1
	v_lshlrev_b64 v[4:5], 3, v[3:4]
	v_add_co_u32 v3, s0, s10, v3
	s_delay_alu instid0(VALU_DEP_2) | instskip(NEXT) | instid1(VALU_DEP_3)
	v_add_co_u32 v8, vcc_lo, s6, v4
	v_add_co_ci_u32_e32 v9, vcc_lo, s7, v5, vcc_lo
	v_add_co_ci_u32_e64 v4, null, s11, 0, s0
	s_waitcnt vmcnt(0)
	global_store_b64 v[8:9], v[1:2], off
.LBB19_24:
	s_and_b32 exec_lo, exec_lo, s13
	s_cbranch_execz .LBB19_26
; %bb.25:
	s_waitcnt vmcnt(1)
	global_store_b8 v[3:4], v7, off
.LBB19_26:
	s_nop 0
	s_sendmsg sendmsg(MSG_DEALLOC_VGPRS)
	s_endpgm
	.section	.rodata,"a",@progbits
	.p2align	6, 0x0
	.amdhsa_kernel _ZN7rocprim17ROCPRIM_304000_NS6detail33device_block_merge_oddeven_kernelINS1_37wrapped_merge_sort_block_merge_configINS0_14default_configElN2at4cuda3cub6detail10OpaqueTypeILi1EEEEEPlSC_PSA_SD_jNS1_19radix_merge_compareILb0ELb0ElNS0_19identity_decomposerEEEEEvT0_T1_T2_T3_T4_SL_T5_
		.amdhsa_group_segment_fixed_size 0
		.amdhsa_private_segment_fixed_size 0
		.amdhsa_kernarg_size 44
		.amdhsa_user_sgpr_count 15
		.amdhsa_user_sgpr_dispatch_ptr 0
		.amdhsa_user_sgpr_queue_ptr 0
		.amdhsa_user_sgpr_kernarg_segment_ptr 1
		.amdhsa_user_sgpr_dispatch_id 0
		.amdhsa_user_sgpr_private_segment_size 0
		.amdhsa_wavefront_size32 1
		.amdhsa_uses_dynamic_stack 0
		.amdhsa_enable_private_segment 0
		.amdhsa_system_sgpr_workgroup_id_x 1
		.amdhsa_system_sgpr_workgroup_id_y 0
		.amdhsa_system_sgpr_workgroup_id_z 0
		.amdhsa_system_sgpr_workgroup_info 0
		.amdhsa_system_vgpr_workitem_id 0
		.amdhsa_next_free_vgpr 11
		.amdhsa_next_free_sgpr 18
		.amdhsa_reserve_vcc 1
		.amdhsa_float_round_mode_32 0
		.amdhsa_float_round_mode_16_64 0
		.amdhsa_float_denorm_mode_32 3
		.amdhsa_float_denorm_mode_16_64 3
		.amdhsa_dx10_clamp 1
		.amdhsa_ieee_mode 1
		.amdhsa_fp16_overflow 0
		.amdhsa_workgroup_processor_mode 1
		.amdhsa_memory_ordered 1
		.amdhsa_forward_progress 0
		.amdhsa_shared_vgpr_count 0
		.amdhsa_exception_fp_ieee_invalid_op 0
		.amdhsa_exception_fp_denorm_src 0
		.amdhsa_exception_fp_ieee_div_zero 0
		.amdhsa_exception_fp_ieee_overflow 0
		.amdhsa_exception_fp_ieee_underflow 0
		.amdhsa_exception_fp_ieee_inexact 0
		.amdhsa_exception_int_div_zero 0
	.end_amdhsa_kernel
	.section	.text._ZN7rocprim17ROCPRIM_304000_NS6detail33device_block_merge_oddeven_kernelINS1_37wrapped_merge_sort_block_merge_configINS0_14default_configElN2at4cuda3cub6detail10OpaqueTypeILi1EEEEEPlSC_PSA_SD_jNS1_19radix_merge_compareILb0ELb0ElNS0_19identity_decomposerEEEEEvT0_T1_T2_T3_T4_SL_T5_,"axG",@progbits,_ZN7rocprim17ROCPRIM_304000_NS6detail33device_block_merge_oddeven_kernelINS1_37wrapped_merge_sort_block_merge_configINS0_14default_configElN2at4cuda3cub6detail10OpaqueTypeILi1EEEEEPlSC_PSA_SD_jNS1_19radix_merge_compareILb0ELb0ElNS0_19identity_decomposerEEEEEvT0_T1_T2_T3_T4_SL_T5_,comdat
.Lfunc_end19:
	.size	_ZN7rocprim17ROCPRIM_304000_NS6detail33device_block_merge_oddeven_kernelINS1_37wrapped_merge_sort_block_merge_configINS0_14default_configElN2at4cuda3cub6detail10OpaqueTypeILi1EEEEEPlSC_PSA_SD_jNS1_19radix_merge_compareILb0ELb0ElNS0_19identity_decomposerEEEEEvT0_T1_T2_T3_T4_SL_T5_, .Lfunc_end19-_ZN7rocprim17ROCPRIM_304000_NS6detail33device_block_merge_oddeven_kernelINS1_37wrapped_merge_sort_block_merge_configINS0_14default_configElN2at4cuda3cub6detail10OpaqueTypeILi1EEEEEPlSC_PSA_SD_jNS1_19radix_merge_compareILb0ELb0ElNS0_19identity_decomposerEEEEEvT0_T1_T2_T3_T4_SL_T5_
                                        ; -- End function
	.section	.AMDGPU.csdata,"",@progbits
; Kernel info:
; codeLenInByte = 944
; NumSgprs: 20
; NumVgprs: 11
; ScratchSize: 0
; MemoryBound: 0
; FloatMode: 240
; IeeeMode: 1
; LDSByteSize: 0 bytes/workgroup (compile time only)
; SGPRBlocks: 2
; VGPRBlocks: 1
; NumSGPRsForWavesPerEU: 20
; NumVGPRsForWavesPerEU: 11
; Occupancy: 16
; WaveLimiterHint : 0
; COMPUTE_PGM_RSRC2:SCRATCH_EN: 0
; COMPUTE_PGM_RSRC2:USER_SGPR: 15
; COMPUTE_PGM_RSRC2:TRAP_HANDLER: 0
; COMPUTE_PGM_RSRC2:TGID_X_EN: 1
; COMPUTE_PGM_RSRC2:TGID_Y_EN: 0
; COMPUTE_PGM_RSRC2:TGID_Z_EN: 0
; COMPUTE_PGM_RSRC2:TIDIG_COMP_CNT: 0
	.section	.text._ZN7rocprim17ROCPRIM_304000_NS6detail45device_block_merge_mergepath_partition_kernelINS1_37wrapped_merge_sort_block_merge_configINS0_14default_configElN2at4cuda3cub6detail10OpaqueTypeILi1EEEEEPljNS1_19radix_merge_compareILb0ELb1ElNS0_19identity_decomposerEEEEEvT0_T1_jPSH_T2_SH_,"axG",@progbits,_ZN7rocprim17ROCPRIM_304000_NS6detail45device_block_merge_mergepath_partition_kernelINS1_37wrapped_merge_sort_block_merge_configINS0_14default_configElN2at4cuda3cub6detail10OpaqueTypeILi1EEEEEPljNS1_19radix_merge_compareILb0ELb1ElNS0_19identity_decomposerEEEEEvT0_T1_jPSH_T2_SH_,comdat
	.protected	_ZN7rocprim17ROCPRIM_304000_NS6detail45device_block_merge_mergepath_partition_kernelINS1_37wrapped_merge_sort_block_merge_configINS0_14default_configElN2at4cuda3cub6detail10OpaqueTypeILi1EEEEEPljNS1_19radix_merge_compareILb0ELb1ElNS0_19identity_decomposerEEEEEvT0_T1_jPSH_T2_SH_ ; -- Begin function _ZN7rocprim17ROCPRIM_304000_NS6detail45device_block_merge_mergepath_partition_kernelINS1_37wrapped_merge_sort_block_merge_configINS0_14default_configElN2at4cuda3cub6detail10OpaqueTypeILi1EEEEEPljNS1_19radix_merge_compareILb0ELb1ElNS0_19identity_decomposerEEEEEvT0_T1_jPSH_T2_SH_
	.globl	_ZN7rocprim17ROCPRIM_304000_NS6detail45device_block_merge_mergepath_partition_kernelINS1_37wrapped_merge_sort_block_merge_configINS0_14default_configElN2at4cuda3cub6detail10OpaqueTypeILi1EEEEEPljNS1_19radix_merge_compareILb0ELb1ElNS0_19identity_decomposerEEEEEvT0_T1_jPSH_T2_SH_
	.p2align	8
	.type	_ZN7rocprim17ROCPRIM_304000_NS6detail45device_block_merge_mergepath_partition_kernelINS1_37wrapped_merge_sort_block_merge_configINS0_14default_configElN2at4cuda3cub6detail10OpaqueTypeILi1EEEEEPljNS1_19radix_merge_compareILb0ELb1ElNS0_19identity_decomposerEEEEEvT0_T1_jPSH_T2_SH_,@function
_ZN7rocprim17ROCPRIM_304000_NS6detail45device_block_merge_mergepath_partition_kernelINS1_37wrapped_merge_sort_block_merge_configINS0_14default_configElN2at4cuda3cub6detail10OpaqueTypeILi1EEEEEPljNS1_19radix_merge_compareILb0ELb1ElNS0_19identity_decomposerEEEEEvT0_T1_jPSH_T2_SH_: ; @_ZN7rocprim17ROCPRIM_304000_NS6detail45device_block_merge_mergepath_partition_kernelINS1_37wrapped_merge_sort_block_merge_configINS0_14default_configElN2at4cuda3cub6detail10OpaqueTypeILi1EEEEEPljNS1_19radix_merge_compareILb0ELb1ElNS0_19identity_decomposerEEEEEvT0_T1_jPSH_T2_SH_
; %bb.0:
	s_load_b64 s[2:3], s[0:1], 0x8
	v_lshl_or_b32 v0, s15, 7, v0
	s_waitcnt lgkmcnt(0)
	s_delay_alu instid0(VALU_DEP_1)
	v_cmp_gt_u32_e32 vcc_lo, s3, v0
	s_and_saveexec_b32 s3, vcc_lo
	s_cbranch_execz .LBB20_6
; %bb.1:
	s_load_b32 s3, s[0:1], 0x20
	s_waitcnt lgkmcnt(0)
	s_lshr_b32 s4, s3, 9
	s_delay_alu instid0(SALU_CYCLE_1) | instskip(NEXT) | instid1(SALU_CYCLE_1)
	s_and_b32 s4, s4, 0x7ffffe
	s_sub_i32 s5, 0, s4
	s_add_i32 s4, s4, -1
	v_and_b32_e32 v1, s5, v0
	v_and_b32_e32 v5, s4, v0
	s_load_b128 s[4:7], s[0:1], 0x10
	s_delay_alu instid0(VALU_DEP_2) | instskip(NEXT) | instid1(VALU_DEP_1)
	v_lshlrev_b32_e32 v1, 10, v1
	v_add_nc_u32_e32 v2, s3, v1
	s_delay_alu instid0(VALU_DEP_1) | instskip(SKIP_1) | instid1(VALU_DEP_2)
	v_min_u32_e32 v4, s2, v2
	v_min_u32_e32 v2, s2, v1
	v_add_nc_u32_e32 v3, s3, v4
	s_delay_alu instid0(VALU_DEP_1) | instskip(SKIP_2) | instid1(VALU_DEP_2)
	v_min_u32_e32 v1, s2, v3
	v_lshlrev_b32_e32 v3, 10, v5
	s_mov_b32 s2, exec_lo
	v_sub_nc_u32_e32 v5, v1, v2
	v_sub_nc_u32_e32 v6, v1, v4
	s_delay_alu instid0(VALU_DEP_2) | instskip(SKIP_1) | instid1(VALU_DEP_2)
	v_min_u32_e32 v1, v5, v3
	v_sub_nc_u32_e32 v3, v4, v2
	v_sub_nc_u32_e64 v6, v1, v6 clamp
	s_delay_alu instid0(VALU_DEP_2) | instskip(NEXT) | instid1(VALU_DEP_1)
	v_min_u32_e32 v7, v1, v3
	v_cmpx_lt_u32_e64 v6, v7
	s_cbranch_execz .LBB20_5
; %bb.2:
	s_load_b64 s[0:1], s[0:1], 0x0
	v_mov_b32_e32 v5, 0
	s_delay_alu instid0(VALU_DEP_1) | instskip(SKIP_1) | instid1(VALU_DEP_2)
	v_mov_b32_e32 v3, v5
	v_lshlrev_b64 v[10:11], 3, v[4:5]
	v_lshlrev_b64 v[8:9], 3, v[2:3]
	s_waitcnt lgkmcnt(0)
	s_delay_alu instid0(VALU_DEP_1) | instskip(NEXT) | instid1(VALU_DEP_2)
	v_add_co_u32 v3, vcc_lo, s0, v8
	v_add_co_ci_u32_e32 v8, vcc_lo, s1, v9, vcc_lo
	s_delay_alu instid0(VALU_DEP_4)
	v_add_co_u32 v9, vcc_lo, s0, v10
	v_add_co_ci_u32_e32 v10, vcc_lo, s1, v11, vcc_lo
	s_mov_b32 s0, 0
	.p2align	6
.LBB20_3:                               ; =>This Inner Loop Header: Depth=1
	v_add_nc_u32_e32 v4, v7, v6
	v_mov_b32_e32 v12, v5
	s_delay_alu instid0(VALU_DEP_2) | instskip(NEXT) | instid1(VALU_DEP_1)
	v_lshrrev_b32_e32 v4, 1, v4
	v_xad_u32 v11, v4, -1, v1
	v_lshlrev_b64 v[13:14], 3, v[4:5]
	s_delay_alu instid0(VALU_DEP_2) | instskip(NEXT) | instid1(VALU_DEP_2)
	v_lshlrev_b64 v[11:12], 3, v[11:12]
	v_add_co_u32 v13, vcc_lo, v3, v13
	s_delay_alu instid0(VALU_DEP_3) | instskip(NEXT) | instid1(VALU_DEP_3)
	v_add_co_ci_u32_e32 v14, vcc_lo, v8, v14, vcc_lo
	v_add_co_u32 v11, vcc_lo, v9, v11
	s_delay_alu instid0(VALU_DEP_4)
	v_add_co_ci_u32_e32 v12, vcc_lo, v10, v12, vcc_lo
	s_clause 0x1
	global_load_b64 v[13:14], v[13:14], off
	global_load_b64 v[11:12], v[11:12], off
	s_waitcnt vmcnt(1)
	v_and_b32_e32 v13, s6, v13
	v_and_b32_e32 v14, s7, v14
	s_waitcnt vmcnt(0)
	v_and_b32_e32 v12, s7, v12
	v_and_b32_e32 v11, s6, v11
	s_delay_alu instid0(VALU_DEP_1) | instskip(SKIP_2) | instid1(VALU_DEP_2)
	v_cmp_gt_i64_e32 vcc_lo, v[13:14], v[11:12]
	v_add_nc_u32_e32 v11, 1, v4
	v_cndmask_b32_e32 v7, v7, v4, vcc_lo
	v_cndmask_b32_e32 v6, v11, v6, vcc_lo
	s_delay_alu instid0(VALU_DEP_1) | instskip(SKIP_1) | instid1(SALU_CYCLE_1)
	v_cmp_ge_u32_e32 vcc_lo, v6, v7
	s_or_b32 s0, vcc_lo, s0
	s_and_not1_b32 exec_lo, exec_lo, s0
	s_cbranch_execnz .LBB20_3
; %bb.4:
	s_or_b32 exec_lo, exec_lo, s0
.LBB20_5:
	s_delay_alu instid0(SALU_CYCLE_1) | instskip(SKIP_1) | instid1(VALU_DEP_1)
	s_or_b32 exec_lo, exec_lo, s2
	v_dual_mov_b32 v1, 0 :: v_dual_add_nc_u32 v2, v6, v2
	v_lshlrev_b64 v[0:1], 2, v[0:1]
	s_waitcnt lgkmcnt(0)
	s_delay_alu instid0(VALU_DEP_1) | instskip(NEXT) | instid1(VALU_DEP_2)
	v_add_co_u32 v0, vcc_lo, s4, v0
	v_add_co_ci_u32_e32 v1, vcc_lo, s5, v1, vcc_lo
	global_store_b32 v[0:1], v2, off
.LBB20_6:
	s_nop 0
	s_sendmsg sendmsg(MSG_DEALLOC_VGPRS)
	s_endpgm
	.section	.rodata,"a",@progbits
	.p2align	6, 0x0
	.amdhsa_kernel _ZN7rocprim17ROCPRIM_304000_NS6detail45device_block_merge_mergepath_partition_kernelINS1_37wrapped_merge_sort_block_merge_configINS0_14default_configElN2at4cuda3cub6detail10OpaqueTypeILi1EEEEEPljNS1_19radix_merge_compareILb0ELb1ElNS0_19identity_decomposerEEEEEvT0_T1_jPSH_T2_SH_
		.amdhsa_group_segment_fixed_size 0
		.amdhsa_private_segment_fixed_size 0
		.amdhsa_kernarg_size 36
		.amdhsa_user_sgpr_count 15
		.amdhsa_user_sgpr_dispatch_ptr 0
		.amdhsa_user_sgpr_queue_ptr 0
		.amdhsa_user_sgpr_kernarg_segment_ptr 1
		.amdhsa_user_sgpr_dispatch_id 0
		.amdhsa_user_sgpr_private_segment_size 0
		.amdhsa_wavefront_size32 1
		.amdhsa_uses_dynamic_stack 0
		.amdhsa_enable_private_segment 0
		.amdhsa_system_sgpr_workgroup_id_x 1
		.amdhsa_system_sgpr_workgroup_id_y 0
		.amdhsa_system_sgpr_workgroup_id_z 0
		.amdhsa_system_sgpr_workgroup_info 0
		.amdhsa_system_vgpr_workitem_id 0
		.amdhsa_next_free_vgpr 15
		.amdhsa_next_free_sgpr 16
		.amdhsa_reserve_vcc 1
		.amdhsa_float_round_mode_32 0
		.amdhsa_float_round_mode_16_64 0
		.amdhsa_float_denorm_mode_32 3
		.amdhsa_float_denorm_mode_16_64 3
		.amdhsa_dx10_clamp 1
		.amdhsa_ieee_mode 1
		.amdhsa_fp16_overflow 0
		.amdhsa_workgroup_processor_mode 1
		.amdhsa_memory_ordered 1
		.amdhsa_forward_progress 0
		.amdhsa_shared_vgpr_count 0
		.amdhsa_exception_fp_ieee_invalid_op 0
		.amdhsa_exception_fp_denorm_src 0
		.amdhsa_exception_fp_ieee_div_zero 0
		.amdhsa_exception_fp_ieee_overflow 0
		.amdhsa_exception_fp_ieee_underflow 0
		.amdhsa_exception_fp_ieee_inexact 0
		.amdhsa_exception_int_div_zero 0
	.end_amdhsa_kernel
	.section	.text._ZN7rocprim17ROCPRIM_304000_NS6detail45device_block_merge_mergepath_partition_kernelINS1_37wrapped_merge_sort_block_merge_configINS0_14default_configElN2at4cuda3cub6detail10OpaqueTypeILi1EEEEEPljNS1_19radix_merge_compareILb0ELb1ElNS0_19identity_decomposerEEEEEvT0_T1_jPSH_T2_SH_,"axG",@progbits,_ZN7rocprim17ROCPRIM_304000_NS6detail45device_block_merge_mergepath_partition_kernelINS1_37wrapped_merge_sort_block_merge_configINS0_14default_configElN2at4cuda3cub6detail10OpaqueTypeILi1EEEEEPljNS1_19radix_merge_compareILb0ELb1ElNS0_19identity_decomposerEEEEEvT0_T1_jPSH_T2_SH_,comdat
.Lfunc_end20:
	.size	_ZN7rocprim17ROCPRIM_304000_NS6detail45device_block_merge_mergepath_partition_kernelINS1_37wrapped_merge_sort_block_merge_configINS0_14default_configElN2at4cuda3cub6detail10OpaqueTypeILi1EEEEEPljNS1_19radix_merge_compareILb0ELb1ElNS0_19identity_decomposerEEEEEvT0_T1_jPSH_T2_SH_, .Lfunc_end20-_ZN7rocprim17ROCPRIM_304000_NS6detail45device_block_merge_mergepath_partition_kernelINS1_37wrapped_merge_sort_block_merge_configINS0_14default_configElN2at4cuda3cub6detail10OpaqueTypeILi1EEEEEPljNS1_19radix_merge_compareILb0ELb1ElNS0_19identity_decomposerEEEEEvT0_T1_jPSH_T2_SH_
                                        ; -- End function
	.section	.AMDGPU.csdata,"",@progbits
; Kernel info:
; codeLenInByte = 484
; NumSgprs: 18
; NumVgprs: 15
; ScratchSize: 0
; MemoryBound: 0
; FloatMode: 240
; IeeeMode: 1
; LDSByteSize: 0 bytes/workgroup (compile time only)
; SGPRBlocks: 2
; VGPRBlocks: 1
; NumSGPRsForWavesPerEU: 18
; NumVGPRsForWavesPerEU: 15
; Occupancy: 16
; WaveLimiterHint : 0
; COMPUTE_PGM_RSRC2:SCRATCH_EN: 0
; COMPUTE_PGM_RSRC2:USER_SGPR: 15
; COMPUTE_PGM_RSRC2:TRAP_HANDLER: 0
; COMPUTE_PGM_RSRC2:TGID_X_EN: 1
; COMPUTE_PGM_RSRC2:TGID_Y_EN: 0
; COMPUTE_PGM_RSRC2:TGID_Z_EN: 0
; COMPUTE_PGM_RSRC2:TIDIG_COMP_CNT: 0
	.section	.text._ZN7rocprim17ROCPRIM_304000_NS6detail35device_block_merge_mergepath_kernelINS1_37wrapped_merge_sort_block_merge_configINS0_14default_configElN2at4cuda3cub6detail10OpaqueTypeILi1EEEEEPlSC_PSA_SD_jNS1_19radix_merge_compareILb0ELb1ElNS0_19identity_decomposerEEEEEvT0_T1_T2_T3_T4_SL_jT5_PKSL_NS1_7vsmem_tE,"axG",@progbits,_ZN7rocprim17ROCPRIM_304000_NS6detail35device_block_merge_mergepath_kernelINS1_37wrapped_merge_sort_block_merge_configINS0_14default_configElN2at4cuda3cub6detail10OpaqueTypeILi1EEEEEPlSC_PSA_SD_jNS1_19radix_merge_compareILb0ELb1ElNS0_19identity_decomposerEEEEEvT0_T1_T2_T3_T4_SL_jT5_PKSL_NS1_7vsmem_tE,comdat
	.protected	_ZN7rocprim17ROCPRIM_304000_NS6detail35device_block_merge_mergepath_kernelINS1_37wrapped_merge_sort_block_merge_configINS0_14default_configElN2at4cuda3cub6detail10OpaqueTypeILi1EEEEEPlSC_PSA_SD_jNS1_19radix_merge_compareILb0ELb1ElNS0_19identity_decomposerEEEEEvT0_T1_T2_T3_T4_SL_jT5_PKSL_NS1_7vsmem_tE ; -- Begin function _ZN7rocprim17ROCPRIM_304000_NS6detail35device_block_merge_mergepath_kernelINS1_37wrapped_merge_sort_block_merge_configINS0_14default_configElN2at4cuda3cub6detail10OpaqueTypeILi1EEEEEPlSC_PSA_SD_jNS1_19radix_merge_compareILb0ELb1ElNS0_19identity_decomposerEEEEEvT0_T1_T2_T3_T4_SL_jT5_PKSL_NS1_7vsmem_tE
	.globl	_ZN7rocprim17ROCPRIM_304000_NS6detail35device_block_merge_mergepath_kernelINS1_37wrapped_merge_sort_block_merge_configINS0_14default_configElN2at4cuda3cub6detail10OpaqueTypeILi1EEEEEPlSC_PSA_SD_jNS1_19radix_merge_compareILb0ELb1ElNS0_19identity_decomposerEEEEEvT0_T1_T2_T3_T4_SL_jT5_PKSL_NS1_7vsmem_tE
	.p2align	8
	.type	_ZN7rocprim17ROCPRIM_304000_NS6detail35device_block_merge_mergepath_kernelINS1_37wrapped_merge_sort_block_merge_configINS0_14default_configElN2at4cuda3cub6detail10OpaqueTypeILi1EEEEEPlSC_PSA_SD_jNS1_19radix_merge_compareILb0ELb1ElNS0_19identity_decomposerEEEEEvT0_T1_T2_T3_T4_SL_jT5_PKSL_NS1_7vsmem_tE,@function
_ZN7rocprim17ROCPRIM_304000_NS6detail35device_block_merge_mergepath_kernelINS1_37wrapped_merge_sort_block_merge_configINS0_14default_configElN2at4cuda3cub6detail10OpaqueTypeILi1EEEEEPlSC_PSA_SD_jNS1_19radix_merge_compareILb0ELb1ElNS0_19identity_decomposerEEEEEvT0_T1_T2_T3_T4_SL_jT5_PKSL_NS1_7vsmem_tE: ; @_ZN7rocprim17ROCPRIM_304000_NS6detail35device_block_merge_mergepath_kernelINS1_37wrapped_merge_sort_block_merge_configINS0_14default_configElN2at4cuda3cub6detail10OpaqueTypeILi1EEEEEPlSC_PSA_SD_jNS1_19radix_merge_compareILb0ELb1ElNS0_19identity_decomposerEEEEEvT0_T1_T2_T3_T4_SL_jT5_PKSL_NS1_7vsmem_tE
; %bb.0:
	s_clause 0x1
	s_load_b64 s[26:27], s[0:1], 0x48
	s_load_b128 s[16:19], s[0:1], 0x20
	s_add_u32 s24, s0, 0x48
	s_addc_u32 s25, s1, 0
	s_waitcnt lgkmcnt(0)
	s_mul_i32 s2, s27, s15
	s_delay_alu instid0(SALU_CYCLE_1) | instskip(NEXT) | instid1(SALU_CYCLE_1)
	s_add_i32 s2, s2, s14
	s_mul_i32 s2, s2, s26
	s_delay_alu instid0(SALU_CYCLE_1) | instskip(NEXT) | instid1(SALU_CYCLE_1)
	s_add_i32 s2, s2, s13
	s_cmp_ge_u32 s2, s18
	s_cbranch_scc1 .LBB21_53
; %bb.1:
	s_load_b128 s[20:23], s[0:1], 0x30
	s_lshr_b32 s29, s16, 10
	s_mov_b32 s15, 0
	s_cmp_lg_u32 s2, s29
	s_mov_b32 s3, s15
	s_cselect_b32 s27, -1, 0
	s_lshl_b64 s[4:5], s[2:3], 2
	v_mov_b32_e32 v2, 0
	s_mov_b32 s19, s15
	v_lshlrev_b32_e32 v9, 3, v0
	s_waitcnt lgkmcnt(0)
	s_add_u32 s4, s22, s4
	s_addc_u32 s5, s23, s5
	s_lshl_b32 s12, s2, 10
	s_load_b64 s[22:23], s[4:5], 0x0
	s_load_b256 s[4:11], s[0:1], 0x0
	global_load_b32 v1, v2, s[24:25] offset:14
	s_lshr_b32 s0, s17, 9
	s_delay_alu instid0(SALU_CYCLE_1) | instskip(NEXT) | instid1(SALU_CYCLE_1)
	s_and_b32 s0, s0, 0x7ffffe
	s_sub_i32 s0, 0, s0
	s_delay_alu instid0(SALU_CYCLE_1)
	s_and_b32 s1, s2, s0
	s_or_b32 s0, s2, s0
	s_lshl_b32 s3, s1, 11
	s_lshl_b32 s1, s1, 10
	s_add_i32 s3, s3, s17
	s_sub_i32 s14, s12, s1
	s_sub_i32 s1, s3, s1
	s_add_i32 s3, s3, s14
	s_min_u32 s28, s16, s1
	s_add_i32 s1, s1, s17
	s_waitcnt lgkmcnt(0)
	s_sub_i32 s14, s3, s22
	s_sub_i32 s3, s3, s23
	s_min_u32 s18, s16, s14
	s_addk_i32 s3, 0x400
	s_cmp_eq_u32 s0, -1
	s_mov_b32 s14, s22
	s_cselect_b32 s3, s1, s3
	s_cselect_b32 s17, s28, s23
	s_min_u32 s3, s3, s16
	s_lshl_b64 s[0:1], s[14:15], 3
	s_sub_i32 s17, s17, s22
	s_sub_i32 s22, s3, s18
	s_add_u32 s23, s4, s0
	s_addc_u32 s28, s5, s1
	s_lshl_b64 s[30:31], s[18:19], 3
	v_cmp_gt_u32_e32 vcc_lo, s17, v0
	s_add_u32 s1, s4, s30
	s_addc_u32 s4, s5, s31
	s_cmp_lt_u32 s13, s26
	s_cselect_b32 s0, 12, 18
	s_delay_alu instid0(SALU_CYCLE_1)
	s_add_u32 s24, s24, s0
	s_addc_u32 s25, s25, 0
	s_cmp_eq_u32 s2, s29
	s_mov_b32 s0, -1
	s_waitcnt vmcnt(0)
	v_lshrrev_b32_e32 v4, 16, v1
	v_and_b32_e32 v1, 0xffff, v1
	global_load_u16 v3, v2, s[24:25]
	v_mul_lo_u32 v1, v1, v4
	s_waitcnt vmcnt(0)
	s_delay_alu instid0(VALU_DEP_1) | instskip(NEXT) | instid1(VALU_DEP_1)
	v_mul_lo_u32 v1, v1, v3
	v_add_nc_u32_e32 v7, v1, v0
	s_cbranch_scc1 .LBB21_3
; %bb.2:
	v_subrev_nc_u32_e32 v1, s17, v0
	v_add_co_u32 v10, s0, s23, v9
	s_delay_alu instid0(VALU_DEP_1) | instskip(NEXT) | instid1(VALU_DEP_3)
	v_add_co_ci_u32_e64 v11, null, s28, 0, s0
	v_lshlrev_b64 v[3:4], 3, v[1:2]
	v_subrev_nc_u32_e32 v1, s17, v7
	s_add_i32 s3, s22, s17
	s_delay_alu instid0(VALU_DEP_2) | instskip(SKIP_1) | instid1(VALU_DEP_3)
	v_add_co_u32 v3, s0, s1, v3
	v_mov_b32_e32 v8, v2
	v_lshlrev_b64 v[1:2], 3, v[1:2]
	v_add_co_ci_u32_e64 v4, s0, s4, v4, s0
	s_delay_alu instid0(VALU_DEP_3) | instskip(NEXT) | instid1(VALU_DEP_1)
	v_lshlrev_b64 v[5:6], 3, v[7:8]
	v_add_co_u32 v5, s0, s23, v5
	s_delay_alu instid0(VALU_DEP_1)
	v_add_co_ci_u32_e64 v6, s0, s28, v6, s0
	v_add_co_u32 v8, s0, s1, v1
	v_cndmask_b32_e32 v1, v3, v10, vcc_lo
	v_add_co_ci_u32_e64 v12, s0, s4, v2, s0
	v_cmp_gt_u32_e64 s0, s17, v7
	v_cndmask_b32_e32 v2, v4, v11, vcc_lo
	s_delay_alu instid0(VALU_DEP_2) | instskip(SKIP_4) | instid1(SALU_CYCLE_1)
	v_cndmask_b32_e64 v4, v12, v6, s0
	v_cndmask_b32_e64 v3, v8, v5, s0
	global_load_b64 v[1:2], v[1:2], off
	global_load_b64 v[5:6], v[3:4], off
	s_mov_b32 s0, s15
	s_and_not1_b32 vcc_lo, exec_lo, s0
	s_cbranch_vccz .LBB21_4
	s_branch .LBB21_9
.LBB21_3:
                                        ; implicit-def: $vgpr5_vgpr6
                                        ; implicit-def: $sgpr3
                                        ; implicit-def: $vgpr1_vgpr2_vgpr3_vgpr4
	s_and_not1_b32 vcc_lo, exec_lo, s0
	s_cbranch_vccnz .LBB21_9
.LBB21_4:
	s_add_i32 s3, s22, s17
	s_mov_b32 s0, exec_lo
                                        ; implicit-def: $vgpr1_vgpr2
	v_cmpx_gt_u32_e64 s3, v0
	s_cbranch_execz .LBB21_6
; %bb.5:
	s_waitcnt vmcnt(1)
	v_subrev_nc_u32_e32 v1, s17, v0
	v_add_co_u32 v3, s2, s23, v9
	v_mov_b32_e32 v2, 0
	v_add_co_ci_u32_e64 v4, null, s28, 0, s2
	s_delay_alu instid0(VALU_DEP_2) | instskip(NEXT) | instid1(VALU_DEP_1)
	v_lshlrev_b64 v[1:2], 3, v[1:2]
	v_add_co_u32 v1, vcc_lo, s1, v1
	s_delay_alu instid0(VALU_DEP_2) | instskip(SKIP_1) | instid1(VALU_DEP_2)
	v_add_co_ci_u32_e32 v2, vcc_lo, s4, v2, vcc_lo
	v_cmp_gt_u32_e32 vcc_lo, s17, v0
	v_dual_cndmask_b32 v1, v1, v3 :: v_dual_cndmask_b32 v2, v2, v4
	global_load_b64 v[1:2], v[1:2], off
.LBB21_6:
	s_or_b32 exec_lo, exec_lo, s0
	s_delay_alu instid0(SALU_CYCLE_1)
	s_mov_b32 s2, exec_lo
	v_cmpx_gt_u32_e64 s3, v7
                                        ; implicit-def: $vgpr3_vgpr4_vgpr5_vgpr6
	s_cbranch_execz .LBB21_8
; %bb.7:
	v_mov_b32_e32 v8, 0
	s_delay_alu instid0(VALU_DEP_1) | instskip(SKIP_1) | instid1(VALU_DEP_1)
	v_lshlrev_b64 v[3:4], 3, v[7:8]
	s_waitcnt vmcnt(0)
	v_add_co_u32 v5, vcc_lo, s23, v3
	s_delay_alu instid0(VALU_DEP_2) | instskip(SKIP_2) | instid1(VALU_DEP_1)
	v_add_co_ci_u32_e32 v6, vcc_lo, s28, v4, vcc_lo
	v_cmp_gt_u32_e32 vcc_lo, s17, v7
	v_subrev_nc_u32_e32 v7, s17, v7
	v_lshlrev_b64 v[3:4], 3, v[7:8]
	s_delay_alu instid0(VALU_DEP_1) | instskip(NEXT) | instid1(VALU_DEP_1)
	v_add_co_u32 v3, s0, s1, v3
	v_add_co_ci_u32_e64 v4, s0, s4, v4, s0
	s_delay_alu instid0(VALU_DEP_1)
	v_dual_cndmask_b32 v3, v3, v5 :: v_dual_cndmask_b32 v4, v4, v6
	global_load_b64 v[5:6], v[3:4], off
.LBB21_8:
	s_or_b32 exec_lo, exec_lo, s2
.LBB21_9:
	v_lshlrev_b32_e32 v7, 1, v0
	s_mov_b32 s0, exec_lo
	s_waitcnt vmcnt(0)
	ds_store_2addr_stride64_b64 v9, v[1:2], v[5:6] offset1:8
	s_waitcnt lgkmcnt(0)
	s_barrier
	v_min_u32_e32 v3, s3, v7
	buffer_gl0_inv
	v_sub_nc_u32_e64 v8, v3, s22 clamp
	v_min_u32_e32 v4, s17, v3
	s_delay_alu instid0(VALU_DEP_1)
	v_cmpx_lt_u32_e64 v8, v4
	s_cbranch_execz .LBB21_13
; %bb.10:
	v_lshlrev_b32_e32 v10, 3, v3
	s_mov_b32 s1, 0
	s_delay_alu instid0(VALU_DEP_1)
	v_lshl_add_u32 v10, s17, 3, v10
	.p2align	6
.LBB21_11:                              ; =>This Inner Loop Header: Depth=1
	v_add_nc_u32_e32 v11, v4, v8
	s_delay_alu instid0(VALU_DEP_1) | instskip(NEXT) | instid1(VALU_DEP_1)
	v_lshrrev_b32_e32 v15, 1, v11
	v_not_b32_e32 v11, v15
	v_lshlrev_b32_e32 v12, 3, v15
	s_delay_alu instid0(VALU_DEP_2)
	v_lshl_add_u32 v13, v11, 3, v10
	ds_load_b64 v[11:12], v12
	ds_load_b64 v[13:14], v13
	s_waitcnt lgkmcnt(1)
	v_and_b32_e32 v12, s21, v12
	v_and_b32_e32 v11, s20, v11
	s_waitcnt lgkmcnt(0)
	v_and_b32_e32 v14, s21, v14
	v_and_b32_e32 v13, s20, v13
	s_delay_alu instid0(VALU_DEP_1) | instskip(SKIP_2) | instid1(VALU_DEP_2)
	v_cmp_gt_i64_e32 vcc_lo, v[11:12], v[13:14]
	v_add_nc_u32_e32 v11, 1, v15
	v_cndmask_b32_e32 v4, v4, v15, vcc_lo
	v_cndmask_b32_e32 v8, v11, v8, vcc_lo
	s_delay_alu instid0(VALU_DEP_1) | instskip(SKIP_1) | instid1(SALU_CYCLE_1)
	v_cmp_ge_u32_e32 vcc_lo, v8, v4
	s_or_b32 s1, vcc_lo, s1
	s_and_not1_b32 exec_lo, exec_lo, s1
	s_cbranch_execnz .LBB21_11
; %bb.12:
	s_or_b32 exec_lo, exec_lo, s1
.LBB21_13:
	s_delay_alu instid0(SALU_CYCLE_1) | instskip(SKIP_2) | instid1(VALU_DEP_2)
	s_or_b32 exec_lo, exec_lo, s0
	v_sub_nc_u32_e32 v3, v3, v8
	v_cmp_ge_u32_e32 vcc_lo, s17, v8
                                        ; implicit-def: $vgpr10
                                        ; implicit-def: $vgpr11
	v_add_nc_u32_e32 v12, s17, v3
	s_delay_alu instid0(VALU_DEP_1) | instskip(NEXT) | instid1(VALU_DEP_1)
	v_cmp_ge_u32_e64 s0, s3, v12
	s_or_b32 s0, vcc_lo, s0
	s_delay_alu instid0(SALU_CYCLE_1)
	s_and_saveexec_b32 s4, s0
	s_cbranch_execz .LBB21_19
; %bb.14:
	v_cmp_gt_u32_e32 vcc_lo, s17, v8
                                        ; implicit-def: $vgpr1_vgpr2
	s_and_saveexec_b32 s0, vcc_lo
	s_cbranch_execz .LBB21_16
; %bb.15:
	v_lshlrev_b32_e32 v1, 3, v8
	ds_load_b64 v[1:2], v1
.LBB21_16:
	s_or_b32 exec_lo, exec_lo, s0
	v_cmp_le_u32_e64 s0, s3, v12
	s_mov_b32 s2, exec_lo
                                        ; implicit-def: $vgpr3_vgpr4
	v_cmpx_gt_u32_e64 s3, v12
	s_cbranch_execz .LBB21_18
; %bb.17:
	v_lshlrev_b32_e32 v3, 3, v12
	ds_load_b64 v[3:4], v3
.LBB21_18:
	s_or_b32 exec_lo, exec_lo, s2
	s_waitcnt lgkmcnt(0)
	v_and_b32_e32 v6, s21, v4
	v_and_b32_e32 v5, s20, v3
	;; [unrolled: 1-line block ×4, first 2 shown]
	s_delay_alu instid0(VALU_DEP_1) | instskip(SKIP_1) | instid1(VALU_DEP_2)
	v_cmp_le_i64_e64 s1, v[10:11], v[5:6]
	v_mov_b32_e32 v5, s17
	s_and_b32 s1, vcc_lo, s1
	s_delay_alu instid0(SALU_CYCLE_1) | instskip(SKIP_1) | instid1(VALU_DEP_1)
	s_or_b32 vcc_lo, s0, s1
	v_cndmask_b32_e32 v11, v12, v8, vcc_lo
	v_dual_cndmask_b32 v5, s3, v5 :: v_dual_add_nc_u32 v10, 1, v11
	s_delay_alu instid0(VALU_DEP_1) | instskip(NEXT) | instid1(VALU_DEP_1)
	v_dual_cndmask_b32 v8, v8, v10 :: v_dual_add_nc_u32 v5, -1, v5
	v_min_u32_e32 v5, v10, v5
	v_cndmask_b32_e32 v10, v10, v12, vcc_lo
	s_delay_alu instid0(VALU_DEP_3) | instskip(NEXT) | instid1(VALU_DEP_3)
	v_cmp_gt_u32_e64 s1, s17, v8
	v_lshlrev_b32_e32 v5, 3, v5
	s_delay_alu instid0(VALU_DEP_3)
	v_cmp_le_u32_e64 s2, s3, v10
	ds_load_b64 v[5:6], v5
	s_waitcnt lgkmcnt(0)
	v_dual_cndmask_b32 v15, v6, v4 :: v_dual_cndmask_b32 v18, v1, v5
	v_dual_cndmask_b32 v16, v5, v3 :: v_dual_cndmask_b32 v17, v2, v6
	v_cndmask_b32_e32 v2, v4, v2, vcc_lo
	s_delay_alu instid0(VALU_DEP_3) | instskip(NEXT) | instid1(VALU_DEP_4)
	v_and_b32_e32 v6, s21, v15
	v_and_b32_e32 v13, s20, v18
	s_delay_alu instid0(VALU_DEP_4) | instskip(SKIP_2) | instid1(VALU_DEP_2)
	v_and_b32_e32 v5, s20, v16
	v_and_b32_e32 v14, s21, v17
	v_cndmask_b32_e32 v1, v3, v1, vcc_lo
	v_cmp_le_i64_e64 s0, v[13:14], v[5:6]
	s_delay_alu instid0(VALU_DEP_1) | instskip(NEXT) | instid1(SALU_CYCLE_1)
	s_and_b32 s0, s1, s0
	s_or_b32 vcc_lo, s2, s0
	v_dual_cndmask_b32 v5, v16, v18 :: v_dual_cndmask_b32 v10, v10, v8
	v_cndmask_b32_e32 v6, v15, v17, vcc_lo
.LBB21_19:
	s_or_b32 exec_lo, exec_lo, s4
	s_add_u32 s4, s8, s14
	v_cmp_gt_u32_e64 s1, s17, v0
	v_cmp_le_u32_e64 s0, s17, v0
	v_or_b32_e32 v8, 0x200, v0
	s_addc_u32 s5, s9, 0
	s_add_u32 s8, s8, s18
	s_mov_b32 s2, 0
	s_addc_u32 s9, s9, 0
	s_and_not1_b32 vcc_lo, exec_lo, s27
	s_barrier
	buffer_gl0_inv
	s_cbranch_vccnz .LBB21_21
; %bb.20:
	v_subrev_nc_u32_e32 v3, s17, v0
	v_add_co_u32 v13, s2, s4, v0
	s_delay_alu instid0(VALU_DEP_1) | instskip(NEXT) | instid1(VALU_DEP_3)
	v_add_co_ci_u32_e64 v14, null, s5, 0, s2
	v_add_co_u32 v3, s2, s8, v3
	s_delay_alu instid0(VALU_DEP_1) | instskip(SKIP_1) | instid1(VALU_DEP_3)
	v_add_co_ci_u32_e64 v4, null, s9, 0, s2
	v_or_b32_e32 v12, 0x200, v0
	v_cndmask_b32_e64 v3, v3, v13, s1
	v_add_co_u32 v13, vcc_lo, 0x200, v13
	s_delay_alu instid0(VALU_DEP_4)
	v_cndmask_b32_e64 v4, v4, v14, s1
	s_mov_b32 s2, -1
	global_load_u8 v15, v[3:4], off
	v_subrev_nc_u32_e32 v3, s17, v12
	v_add_co_ci_u32_e32 v4, vcc_lo, 0, v14, vcc_lo
	v_cmp_gt_u32_e32 vcc_lo, s17, v12
	s_delay_alu instid0(VALU_DEP_3) | instskip(NEXT) | instid1(VALU_DEP_1)
	v_add_co_u32 v3, s1, s8, v3
	v_add_co_ci_u32_e64 v14, null, s9, 0, s1
	s_delay_alu instid0(VALU_DEP_1)
	v_dual_cndmask_b32 v3, v3, v13 :: v_dual_cndmask_b32 v4, v14, v4
	s_waitcnt vmcnt(0)
	ds_store_b8 v0, v15
	s_cbranch_execz .LBB21_22
	s_branch .LBB21_33
.LBB21_21:
                                        ; implicit-def: $vgpr12
                                        ; implicit-def: $vgpr3_vgpr4
.LBB21_22:
	s_mov_b32 s1, 0
                                        ; implicit-def: $vgpr3_vgpr4
	s_and_saveexec_b32 s13, s0
	s_delay_alu instid0(SALU_CYCLE_1)
	s_xor_b32 s0, exec_lo, s13
	s_cbranch_execnz .LBB21_54
; %bb.23:
	s_and_not1_saveexec_b32 s0, s0
	s_cbranch_execnz .LBB21_57
.LBB21_24:
	s_or_b32 exec_lo, exec_lo, s0
	s_and_saveexec_b32 s0, s1
	s_cbranch_execz .LBB21_26
.LBB21_25:
	global_load_u8 v3, v[3:4], off
	s_waitcnt vmcnt(0)
	ds_store_b8 v0, v3
.LBB21_26:
	s_or_b32 exec_lo, exec_lo, s0
	s_delay_alu instid0(SALU_CYCLE_1)
	s_mov_b32 s0, exec_lo
                                        ; implicit-def: $vgpr12
                                        ; implicit-def: $vgpr3_vgpr4
	v_cmpx_le_u32_e64 s17, v8
	s_xor_b32 s0, exec_lo, s0
	s_cbranch_execz .LBB21_30
; %bb.27:
	v_subrev_nc_u32_e32 v13, s17, v8
	s_mov_b32 s1, s2
	s_mov_b32 s13, exec_lo
                                        ; implicit-def: $vgpr12
                                        ; implicit-def: $vgpr3_vgpr4
	s_delay_alu instid0(VALU_DEP_1)
	v_cmpx_gt_u32_e64 s22, v13
; %bb.28:
	v_add_co_u32 v3, s1, s8, v13
	v_or_b32_e32 v12, 0x200, v0
	v_add_co_ci_u32_e64 v4, null, s9, 0, s1
	s_or_b32 s1, s2, exec_lo
; %bb.29:
	s_or_b32 exec_lo, exec_lo, s13
	s_delay_alu instid0(SALU_CYCLE_1) | instskip(SKIP_1) | instid1(SALU_CYCLE_1)
	s_and_not1_b32 s2, s2, exec_lo
	s_and_b32 s1, s1, exec_lo
	s_or_b32 s2, s2, s1
.LBB21_30:
	s_and_not1_saveexec_b32 s0, s0
; %bb.31:
	v_add_co_u32 v3, s1, s4, v0
	s_delay_alu instid0(VALU_DEP_1) | instskip(SKIP_1) | instid1(VALU_DEP_3)
	v_add_co_ci_u32_e64 v4, null, s5, 0, s1
	v_mov_b32_e32 v12, v8
	v_add_co_u32 v3, vcc_lo, 0x200, v3
	s_delay_alu instid0(VALU_DEP_3)
	v_add_co_ci_u32_e32 v4, vcc_lo, 0, v4, vcc_lo
	s_or_b32 s2, s2, exec_lo
; %bb.32:
	s_or_b32 exec_lo, exec_lo, s0
.LBB21_33:
	s_and_saveexec_b32 s0, s2
	s_cbranch_execz .LBB21_35
; %bb.34:
	global_load_u8 v3, v[3:4], off
	s_waitcnt vmcnt(0)
	ds_store_b8 v12, v3
.LBB21_35:
	s_or_b32 exec_lo, exec_lo, s0
	v_add_nc_u32_e32 v12, s12, v7
	s_and_not1_b32 vcc_lo, exec_lo, s27
	s_waitcnt lgkmcnt(0)
	s_barrier
	buffer_gl0_inv
	s_cbranch_vccnz .LBB21_37
; %bb.36:
	ds_load_u8 v3, v11
	v_mov_b32_e32 v4, 0
	s_mov_b32 s0, -1
	s_waitcnt lgkmcnt(0)
	global_store_b8 v12, v3, s[10:11]
	s_cbranch_execz .LBB21_38
	s_branch .LBB21_43
.LBB21_37:
	s_mov_b32 s0, 0
                                        ; implicit-def: $vgpr3_vgpr4
.LBB21_38:
	s_mov_b32 s1, exec_lo
	v_cmpx_gt_u32_e64 s3, v7
	s_cbranch_execz .LBB21_40
; %bb.39:
	ds_load_u8 v3, v11
	s_waitcnt lgkmcnt(0)
	global_store_b8 v12, v3, s[10:11]
.LBB21_40:
	s_or_b32 exec_lo, exec_lo, s1
	v_or_b32_e32 v3, 1, v7
	s_mov_b32 s1, exec_lo
	s_delay_alu instid0(VALU_DEP_1)
	v_cmpx_gt_u32_e64 s3, v3
                                        ; implicit-def: $vgpr3_vgpr4
; %bb.41:
	v_mov_b32_e32 v4, 0
	s_or_b32 s0, s0, exec_lo
; %bb.42:
	s_or_b32 exec_lo, exec_lo, s1
.LBB21_43:
	s_and_saveexec_b32 s1, s0
	s_cbranch_execz .LBB21_45
; %bb.44:
	ds_load_u8 v10, v10
	v_add_co_u32 v3, vcc_lo, s10, v12
	v_add_co_ci_u32_e32 v4, vcc_lo, s11, v4, vcc_lo
	s_waitcnt lgkmcnt(0)
	global_store_b8 v[3:4], v10, off offset:1
.LBB21_45:
	s_or_b32 exec_lo, exec_lo, s1
	v_lshrrev_b32_e32 v3, 1, v0
	v_lshrrev_b32_e32 v4, 2, v0
	;; [unrolled: 1-line block ×3, first 2 shown]
	s_mov_b32 s13, 0
	s_waitcnt_vscnt null, 0x0
	v_and_b32_e32 v3, 0xf8, v3
	s_lshl_b64 s[0:1], s[12:13], 3
	v_and_b32_e32 v4, 0x78, v4
	s_add_u32 s0, s6, s0
	s_barrier
	v_lshl_add_u32 v3, v7, 3, v3
	v_and_b32_e32 v7, 0xf8, v10
	buffer_gl0_inv
	s_barrier
	buffer_gl0_inv
	s_addc_u32 s1, s7, s1
	ds_store_2addr_b64 v3, v[1:2], v[5:6] offset1:1
	v_add_co_u32 v1, s0, s0, v9
	v_add_nc_u32_e32 v5, v9, v4
	v_add_nc_u32_e32 v6, v9, v7
	v_add_co_ci_u32_e64 v2, null, s1, 0, s0
	s_and_b32 vcc_lo, exec_lo, s27
	s_waitcnt lgkmcnt(0)
	s_cbranch_vccz .LBB21_47
; %bb.46:
	s_barrier
	buffer_gl0_inv
	ds_load_b64 v[9:10], v5
	ds_load_b64 v[3:4], v6 offset:4096
	s_mov_b32 s13, -1
	s_waitcnt lgkmcnt(1)
	global_store_b64 v[1:2], v[9:10], off
	s_cbranch_execz .LBB21_48
	s_branch .LBB21_51
.LBB21_47:
                                        ; implicit-def: $vgpr3_vgpr4
.LBB21_48:
	s_waitcnt lgkmcnt(0)
	s_waitcnt_vscnt null, 0x0
	s_barrier
	buffer_gl0_inv
	ds_load_b64 v[3:4], v6 offset:4096
	s_sub_i32 s0, s16, s12
	s_mov_b32 s1, exec_lo
	v_cmpx_gt_u32_e64 s0, v0
	s_cbranch_execz .LBB21_50
; %bb.49:
	ds_load_b64 v[5:6], v5
	s_waitcnt lgkmcnt(0)
	global_store_b64 v[1:2], v[5:6], off
.LBB21_50:
	s_or_b32 exec_lo, exec_lo, s1
	v_cmp_gt_u32_e64 s13, s0, v8
.LBB21_51:
	s_delay_alu instid0(VALU_DEP_1)
	s_and_saveexec_b32 s0, s13
	s_cbranch_execz .LBB21_53
; %bb.52:
	v_add_co_u32 v0, vcc_lo, 0x1000, v1
	v_add_co_ci_u32_e32 v1, vcc_lo, 0, v2, vcc_lo
	s_waitcnt lgkmcnt(0)
	global_store_b64 v[0:1], v[3:4], off
.LBB21_53:
	s_nop 0
	s_sendmsg sendmsg(MSG_DEALLOC_VGPRS)
	s_endpgm
.LBB21_54:
	v_subrev_nc_u32_e32 v12, s17, v0
	s_mov_b32 s13, exec_lo
                                        ; implicit-def: $vgpr3_vgpr4
	s_delay_alu instid0(VALU_DEP_1)
	v_cmpx_gt_u32_e64 s22, v12
	s_xor_b32 s13, exec_lo, s13
; %bb.55:
	v_add_co_u32 v3, s14, s8, v12
	s_mov_b32 s1, exec_lo
	v_add_co_ci_u32_e64 v4, null, s9, 0, s14
; %bb.56:
	s_or_b32 exec_lo, exec_lo, s13
	s_delay_alu instid0(SALU_CYCLE_1)
	s_and_b32 s1, s1, exec_lo
	s_and_not1_saveexec_b32 s0, s0
	s_cbranch_execz .LBB21_24
.LBB21_57:
	v_add_co_u32 v3, s13, s4, v0
	s_delay_alu instid0(VALU_DEP_1)
	v_add_co_ci_u32_e64 v4, null, s5, 0, s13
	s_or_b32 s1, s1, exec_lo
	s_or_b32 exec_lo, exec_lo, s0
	s_and_saveexec_b32 s0, s1
	s_cbranch_execnz .LBB21_25
	s_branch .LBB21_26
	.section	.rodata,"a",@progbits
	.p2align	6, 0x0
	.amdhsa_kernel _ZN7rocprim17ROCPRIM_304000_NS6detail35device_block_merge_mergepath_kernelINS1_37wrapped_merge_sort_block_merge_configINS0_14default_configElN2at4cuda3cub6detail10OpaqueTypeILi1EEEEEPlSC_PSA_SD_jNS1_19radix_merge_compareILb0ELb1ElNS0_19identity_decomposerEEEEEvT0_T1_T2_T3_T4_SL_jT5_PKSL_NS1_7vsmem_tE
		.amdhsa_group_segment_fixed_size 8448
		.amdhsa_private_segment_fixed_size 0
		.amdhsa_kernarg_size 328
		.amdhsa_user_sgpr_count 13
		.amdhsa_user_sgpr_dispatch_ptr 0
		.amdhsa_user_sgpr_queue_ptr 0
		.amdhsa_user_sgpr_kernarg_segment_ptr 1
		.amdhsa_user_sgpr_dispatch_id 0
		.amdhsa_user_sgpr_private_segment_size 0
		.amdhsa_wavefront_size32 1
		.amdhsa_uses_dynamic_stack 0
		.amdhsa_enable_private_segment 0
		.amdhsa_system_sgpr_workgroup_id_x 1
		.amdhsa_system_sgpr_workgroup_id_y 1
		.amdhsa_system_sgpr_workgroup_id_z 1
		.amdhsa_system_sgpr_workgroup_info 0
		.amdhsa_system_vgpr_workitem_id 0
		.amdhsa_next_free_vgpr 19
		.amdhsa_next_free_sgpr 32
		.amdhsa_reserve_vcc 1
		.amdhsa_float_round_mode_32 0
		.amdhsa_float_round_mode_16_64 0
		.amdhsa_float_denorm_mode_32 3
		.amdhsa_float_denorm_mode_16_64 3
		.amdhsa_dx10_clamp 1
		.amdhsa_ieee_mode 1
		.amdhsa_fp16_overflow 0
		.amdhsa_workgroup_processor_mode 1
		.amdhsa_memory_ordered 1
		.amdhsa_forward_progress 0
		.amdhsa_shared_vgpr_count 0
		.amdhsa_exception_fp_ieee_invalid_op 0
		.amdhsa_exception_fp_denorm_src 0
		.amdhsa_exception_fp_ieee_div_zero 0
		.amdhsa_exception_fp_ieee_overflow 0
		.amdhsa_exception_fp_ieee_underflow 0
		.amdhsa_exception_fp_ieee_inexact 0
		.amdhsa_exception_int_div_zero 0
	.end_amdhsa_kernel
	.section	.text._ZN7rocprim17ROCPRIM_304000_NS6detail35device_block_merge_mergepath_kernelINS1_37wrapped_merge_sort_block_merge_configINS0_14default_configElN2at4cuda3cub6detail10OpaqueTypeILi1EEEEEPlSC_PSA_SD_jNS1_19radix_merge_compareILb0ELb1ElNS0_19identity_decomposerEEEEEvT0_T1_T2_T3_T4_SL_jT5_PKSL_NS1_7vsmem_tE,"axG",@progbits,_ZN7rocprim17ROCPRIM_304000_NS6detail35device_block_merge_mergepath_kernelINS1_37wrapped_merge_sort_block_merge_configINS0_14default_configElN2at4cuda3cub6detail10OpaqueTypeILi1EEEEEPlSC_PSA_SD_jNS1_19radix_merge_compareILb0ELb1ElNS0_19identity_decomposerEEEEEvT0_T1_T2_T3_T4_SL_jT5_PKSL_NS1_7vsmem_tE,comdat
.Lfunc_end21:
	.size	_ZN7rocprim17ROCPRIM_304000_NS6detail35device_block_merge_mergepath_kernelINS1_37wrapped_merge_sort_block_merge_configINS0_14default_configElN2at4cuda3cub6detail10OpaqueTypeILi1EEEEEPlSC_PSA_SD_jNS1_19radix_merge_compareILb0ELb1ElNS0_19identity_decomposerEEEEEvT0_T1_T2_T3_T4_SL_jT5_PKSL_NS1_7vsmem_tE, .Lfunc_end21-_ZN7rocprim17ROCPRIM_304000_NS6detail35device_block_merge_mergepath_kernelINS1_37wrapped_merge_sort_block_merge_configINS0_14default_configElN2at4cuda3cub6detail10OpaqueTypeILi1EEEEEPlSC_PSA_SD_jNS1_19radix_merge_compareILb0ELb1ElNS0_19identity_decomposerEEEEEvT0_T1_T2_T3_T4_SL_jT5_PKSL_NS1_7vsmem_tE
                                        ; -- End function
	.section	.AMDGPU.csdata,"",@progbits
; Kernel info:
; codeLenInByte = 2388
; NumSgprs: 34
; NumVgprs: 19
; ScratchSize: 0
; MemoryBound: 0
; FloatMode: 240
; IeeeMode: 1
; LDSByteSize: 8448 bytes/workgroup (compile time only)
; SGPRBlocks: 4
; VGPRBlocks: 2
; NumSGPRsForWavesPerEU: 34
; NumVGPRsForWavesPerEU: 19
; Occupancy: 16
; WaveLimiterHint : 1
; COMPUTE_PGM_RSRC2:SCRATCH_EN: 0
; COMPUTE_PGM_RSRC2:USER_SGPR: 13
; COMPUTE_PGM_RSRC2:TRAP_HANDLER: 0
; COMPUTE_PGM_RSRC2:TGID_X_EN: 1
; COMPUTE_PGM_RSRC2:TGID_Y_EN: 1
; COMPUTE_PGM_RSRC2:TGID_Z_EN: 1
; COMPUTE_PGM_RSRC2:TIDIG_COMP_CNT: 0
	.section	.text._ZN7rocprim17ROCPRIM_304000_NS6detail33device_block_merge_oddeven_kernelINS1_37wrapped_merge_sort_block_merge_configINS0_14default_configElN2at4cuda3cub6detail10OpaqueTypeILi1EEEEEPlSC_PSA_SD_jNS1_19radix_merge_compareILb0ELb1ElNS0_19identity_decomposerEEEEEvT0_T1_T2_T3_T4_SL_T5_,"axG",@progbits,_ZN7rocprim17ROCPRIM_304000_NS6detail33device_block_merge_oddeven_kernelINS1_37wrapped_merge_sort_block_merge_configINS0_14default_configElN2at4cuda3cub6detail10OpaqueTypeILi1EEEEEPlSC_PSA_SD_jNS1_19radix_merge_compareILb0ELb1ElNS0_19identity_decomposerEEEEEvT0_T1_T2_T3_T4_SL_T5_,comdat
	.protected	_ZN7rocprim17ROCPRIM_304000_NS6detail33device_block_merge_oddeven_kernelINS1_37wrapped_merge_sort_block_merge_configINS0_14default_configElN2at4cuda3cub6detail10OpaqueTypeILi1EEEEEPlSC_PSA_SD_jNS1_19radix_merge_compareILb0ELb1ElNS0_19identity_decomposerEEEEEvT0_T1_T2_T3_T4_SL_T5_ ; -- Begin function _ZN7rocprim17ROCPRIM_304000_NS6detail33device_block_merge_oddeven_kernelINS1_37wrapped_merge_sort_block_merge_configINS0_14default_configElN2at4cuda3cub6detail10OpaqueTypeILi1EEEEEPlSC_PSA_SD_jNS1_19radix_merge_compareILb0ELb1ElNS0_19identity_decomposerEEEEEvT0_T1_T2_T3_T4_SL_T5_
	.globl	_ZN7rocprim17ROCPRIM_304000_NS6detail33device_block_merge_oddeven_kernelINS1_37wrapped_merge_sort_block_merge_configINS0_14default_configElN2at4cuda3cub6detail10OpaqueTypeILi1EEEEEPlSC_PSA_SD_jNS1_19radix_merge_compareILb0ELb1ElNS0_19identity_decomposerEEEEEvT0_T1_T2_T3_T4_SL_T5_
	.p2align	8
	.type	_ZN7rocprim17ROCPRIM_304000_NS6detail33device_block_merge_oddeven_kernelINS1_37wrapped_merge_sort_block_merge_configINS0_14default_configElN2at4cuda3cub6detail10OpaqueTypeILi1EEEEEPlSC_PSA_SD_jNS1_19radix_merge_compareILb0ELb1ElNS0_19identity_decomposerEEEEEvT0_T1_T2_T3_T4_SL_T5_,@function
_ZN7rocprim17ROCPRIM_304000_NS6detail33device_block_merge_oddeven_kernelINS1_37wrapped_merge_sort_block_merge_configINS0_14default_configElN2at4cuda3cub6detail10OpaqueTypeILi1EEEEEPlSC_PSA_SD_jNS1_19radix_merge_compareILb0ELb1ElNS0_19identity_decomposerEEEEEvT0_T1_T2_T3_T4_SL_T5_: ; @_ZN7rocprim17ROCPRIM_304000_NS6detail33device_block_merge_oddeven_kernelINS1_37wrapped_merge_sort_block_merge_configINS0_14default_configElN2at4cuda3cub6detail10OpaqueTypeILi1EEEEEPlSC_PSA_SD_jNS1_19radix_merge_compareILb0ELb1ElNS0_19identity_decomposerEEEEEvT0_T1_T2_T3_T4_SL_T5_
; %bb.0:
	s_load_b64 s[16:17], s[0:1], 0x20
	s_waitcnt lgkmcnt(0)
	s_lshr_b32 s2, s16, 8
	s_delay_alu instid0(SALU_CYCLE_1) | instskip(SKIP_4) | instid1(SALU_CYCLE_1)
	s_cmp_lg_u32 s15, s2
	s_cselect_b32 s4, -1, 0
	s_cmp_eq_u32 s15, s2
	s_cselect_b32 s14, -1, 0
	s_lshl_b32 s12, s15, 8
	s_sub_i32 s2, s16, s12
	s_delay_alu instid0(SALU_CYCLE_1) | instskip(NEXT) | instid1(VALU_DEP_1)
	v_cmp_gt_u32_e64 s3, s2, v0
	s_or_b32 s2, s4, s3
	s_delay_alu instid0(SALU_CYCLE_1)
	s_and_saveexec_b32 s4, s2
	s_cbranch_execz .LBB22_26
; %bb.1:
	s_load_b256 s[4:11], s[0:1], 0x0
	s_mov_b32 s13, 0
	v_lshlrev_b32_e32 v1, 3, v0
	s_lshl_b64 s[18:19], s[12:13], 3
	v_add_nc_u32_e32 v5, s12, v0
	s_waitcnt lgkmcnt(0)
	s_add_u32 s18, s4, s18
	s_addc_u32 s19, s5, s19
	s_add_u32 s8, s8, s12
	s_addc_u32 s9, s9, 0
	s_lshr_b32 s2, s17, 8
	global_load_u8 v7, v0, s[8:9]
	global_load_b64 v[1:2], v1, s[18:19]
	s_sub_i32 s8, 0, s2
	s_delay_alu instid0(SALU_CYCLE_1) | instskip(NEXT) | instid1(SALU_CYCLE_1)
	s_and_b32 s8, s15, s8
	s_and_b32 s2, s8, s2
	s_lshl_b32 s15, s8, 8
	s_sub_i32 s8, 0, s17
	s_cmp_eq_u32 s2, 0
	s_cselect_b32 s2, -1, 0
	s_delay_alu instid0(SALU_CYCLE_1) | instskip(SKIP_1) | instid1(SALU_CYCLE_1)
	s_and_b32 s9, s2, exec_lo
	s_cselect_b32 s8, s17, s8
	s_add_i32 s8, s8, s15
	s_delay_alu instid0(SALU_CYCLE_1)
	s_cmp_lt_u32 s8, s16
	s_cbranch_scc1 .LBB22_6
; %bb.2:
	s_and_b32 vcc_lo, exec_lo, s14
	s_cbranch_vccz .LBB22_7
; %bb.3:
	s_mov_b32 s9, 0
	s_mov_b32 s12, exec_lo
                                        ; implicit-def: $vgpr3_vgpr4
	v_cmpx_gt_u32_e64 s16, v5
	s_cbranch_execz .LBB22_5
; %bb.4:
	v_mov_b32_e32 v6, 0
	s_mov_b32 s13, exec_lo
	s_delay_alu instid0(VALU_DEP_1) | instskip(NEXT) | instid1(VALU_DEP_1)
	v_lshlrev_b64 v[3:4], 3, v[5:6]
	v_add_co_u32 v8, vcc_lo, s6, v3
	v_add_co_u32 v3, s18, s10, v5
	s_delay_alu instid0(VALU_DEP_3)
	v_add_co_ci_u32_e32 v9, vcc_lo, s7, v4, vcc_lo
	v_add_co_ci_u32_e64 v4, null, s11, 0, s18
	s_waitcnt vmcnt(0)
	global_store_b64 v[8:9], v[1:2], off
.LBB22_5:
	s_or_b32 exec_lo, exec_lo, s12
	s_delay_alu instid0(SALU_CYCLE_1)
	s_and_b32 vcc_lo, exec_lo, s9
	s_cbranch_vccnz .LBB22_8
	s_branch .LBB22_9
.LBB22_6:
                                        ; implicit-def: $vgpr3_vgpr4
	s_cbranch_execnz .LBB22_10
	s_branch .LBB22_24
.LBB22_7:
                                        ; implicit-def: $vgpr3_vgpr4
	s_cbranch_execz .LBB22_9
.LBB22_8:
	v_mov_b32_e32 v6, 0
	s_or_b32 s13, s13, exec_lo
	s_delay_alu instid0(VALU_DEP_1) | instskip(NEXT) | instid1(VALU_DEP_1)
	v_lshlrev_b64 v[3:4], 3, v[5:6]
	v_add_co_u32 v8, vcc_lo, s6, v3
	v_add_co_u32 v3, s9, s10, v5
	s_delay_alu instid0(VALU_DEP_3)
	v_add_co_ci_u32_e32 v9, vcc_lo, s7, v4, vcc_lo
	v_add_co_ci_u32_e64 v4, null, s11, 0, s9
	s_waitcnt vmcnt(0)
	global_store_b64 v[8:9], v[1:2], off
.LBB22_9:
	s_branch .LBB22_24
.LBB22_10:
	s_load_b64 s[0:1], s[0:1], 0x28
	s_min_u32 s9, s8, s16
	s_and_b32 vcc_lo, exec_lo, s14
	s_add_i32 s12, s15, s9
	s_delay_alu instid0(SALU_CYCLE_1) | instskip(SKIP_2) | instid1(VALU_DEP_1)
	v_subrev_nc_u32_e32 v0, s12, v5
	s_min_u32 s12, s15, s9
	s_add_i32 s15, s9, s17
	v_add_nc_u32_e32 v0, s12, v0
	s_min_u32 s12, s15, s16
	s_cbranch_vccz .LBB22_18
; %bb.11:
                                        ; implicit-def: $vgpr3_vgpr4
	s_and_saveexec_b32 s14, s3
	s_cbranch_execz .LBB22_17
; %bb.12:
	v_mov_b32_e32 v8, s9
	s_cmp_ge_u32 s8, s12
	s_cbranch_scc1 .LBB22_16
; %bb.13:
	s_waitcnt vmcnt(0) lgkmcnt(0)
	v_dual_mov_b32 v9, s12 :: v_dual_and_b32 v4, s1, v2
	v_dual_mov_b32 v8, s9 :: v_dual_and_b32 v3, s0, v1
	v_mov_b32_e32 v6, 0
	s_mov_b32 s3, 0
	.p2align	6
.LBB22_14:                              ; =>This Inner Loop Header: Depth=1
	s_delay_alu instid0(VALU_DEP_2) | instskip(NEXT) | instid1(VALU_DEP_1)
	v_add_nc_u32_e32 v5, v8, v9
	v_lshrrev_b32_e32 v5, 1, v5
	s_delay_alu instid0(VALU_DEP_1) | instskip(NEXT) | instid1(VALU_DEP_1)
	v_lshlrev_b64 v[10:11], 3, v[5:6]
	v_add_co_u32 v10, vcc_lo, s4, v10
	s_delay_alu instid0(VALU_DEP_2) | instskip(SKIP_4) | instid1(VALU_DEP_1)
	v_add_co_ci_u32_e32 v11, vcc_lo, s5, v11, vcc_lo
	global_load_b64 v[10:11], v[10:11], off
	s_waitcnt vmcnt(0)
	v_and_b32_e32 v11, s1, v11
	v_and_b32_e32 v10, s0, v10
	v_cmp_gt_i64_e32 vcc_lo, v[3:4], v[10:11]
	v_cndmask_b32_e64 v12, 0, 1, vcc_lo
	v_cmp_le_i64_e32 vcc_lo, v[10:11], v[3:4]
	v_add_nc_u32_e32 v11, 1, v5
	v_cndmask_b32_e64 v10, 0, 1, vcc_lo
	s_delay_alu instid0(VALU_DEP_1) | instskip(NEXT) | instid1(VALU_DEP_1)
	v_cndmask_b32_e64 v10, v10, v12, s2
	v_and_b32_e32 v10, 1, v10
	s_delay_alu instid0(VALU_DEP_1) | instskip(SKIP_1) | instid1(VALU_DEP_1)
	v_cmp_eq_u32_e32 vcc_lo, 1, v10
	v_dual_cndmask_b32 v9, v5, v9 :: v_dual_cndmask_b32 v8, v8, v11
	v_cmp_ge_u32_e32 vcc_lo, v8, v9
	s_or_b32 s3, vcc_lo, s3
	s_delay_alu instid0(SALU_CYCLE_1)
	s_and_not1_b32 exec_lo, exec_lo, s3
	s_cbranch_execnz .LBB22_14
; %bb.15:
	s_or_b32 exec_lo, exec_lo, s3
.LBB22_16:
	s_delay_alu instid0(VALU_DEP_1) | instskip(SKIP_1) | instid1(VALU_DEP_1)
	v_dual_mov_b32 v4, 0 :: v_dual_add_nc_u32 v3, v8, v0
	s_or_b32 s13, s13, exec_lo
	v_lshlrev_b64 v[4:5], 3, v[3:4]
	v_add_co_u32 v3, s3, s10, v3
	s_delay_alu instid0(VALU_DEP_2) | instskip(NEXT) | instid1(VALU_DEP_3)
	v_add_co_u32 v8, vcc_lo, s6, v4
	v_add_co_ci_u32_e32 v9, vcc_lo, s7, v5, vcc_lo
	v_add_co_ci_u32_e64 v4, null, s11, 0, s3
	s_waitcnt vmcnt(0)
	global_store_b64 v[8:9], v[1:2], off
.LBB22_17:
	s_or_b32 exec_lo, exec_lo, s14
	s_branch .LBB22_24
.LBB22_18:
                                        ; implicit-def: $vgpr3_vgpr4
	s_cbranch_execz .LBB22_24
; %bb.19:
	v_mov_b32_e32 v8, s9
	s_cmp_ge_u32 s8, s12
	s_cbranch_scc1 .LBB22_23
; %bb.20:
	s_waitcnt vmcnt(0) lgkmcnt(0)
	v_dual_mov_b32 v9, s12 :: v_dual_and_b32 v4, s1, v2
	v_dual_mov_b32 v8, s9 :: v_dual_and_b32 v3, s0, v1
	v_mov_b32_e32 v6, 0
	s_mov_b32 s3, 0
	.p2align	6
.LBB22_21:                              ; =>This Inner Loop Header: Depth=1
	s_delay_alu instid0(VALU_DEP_2) | instskip(NEXT) | instid1(VALU_DEP_1)
	v_add_nc_u32_e32 v5, v8, v9
	v_lshrrev_b32_e32 v5, 1, v5
	s_delay_alu instid0(VALU_DEP_1) | instskip(NEXT) | instid1(VALU_DEP_1)
	v_lshlrev_b64 v[10:11], 3, v[5:6]
	v_add_co_u32 v10, vcc_lo, s4, v10
	s_delay_alu instid0(VALU_DEP_2) | instskip(SKIP_4) | instid1(VALU_DEP_1)
	v_add_co_ci_u32_e32 v11, vcc_lo, s5, v11, vcc_lo
	global_load_b64 v[10:11], v[10:11], off
	s_waitcnt vmcnt(0)
	v_and_b32_e32 v11, s1, v11
	v_and_b32_e32 v10, s0, v10
	v_cmp_gt_i64_e32 vcc_lo, v[3:4], v[10:11]
	v_cndmask_b32_e64 v12, 0, 1, vcc_lo
	v_cmp_le_i64_e32 vcc_lo, v[10:11], v[3:4]
	v_add_nc_u32_e32 v11, 1, v5
	v_cndmask_b32_e64 v10, 0, 1, vcc_lo
	s_delay_alu instid0(VALU_DEP_1) | instskip(NEXT) | instid1(VALU_DEP_1)
	v_cndmask_b32_e64 v10, v10, v12, s2
	v_and_b32_e32 v10, 1, v10
	s_delay_alu instid0(VALU_DEP_1) | instskip(SKIP_1) | instid1(VALU_DEP_1)
	v_cmp_eq_u32_e32 vcc_lo, 1, v10
	v_dual_cndmask_b32 v9, v5, v9 :: v_dual_cndmask_b32 v8, v8, v11
	v_cmp_ge_u32_e32 vcc_lo, v8, v9
	s_or_b32 s3, vcc_lo, s3
	s_delay_alu instid0(SALU_CYCLE_1)
	s_and_not1_b32 exec_lo, exec_lo, s3
	s_cbranch_execnz .LBB22_21
; %bb.22:
	s_or_b32 exec_lo, exec_lo, s3
.LBB22_23:
	s_delay_alu instid0(VALU_DEP_1) | instskip(SKIP_1) | instid1(VALU_DEP_1)
	v_dual_mov_b32 v4, 0 :: v_dual_add_nc_u32 v3, v8, v0
	s_mov_b32 s13, -1
	v_lshlrev_b64 v[4:5], 3, v[3:4]
	s_waitcnt lgkmcnt(0)
	v_add_co_u32 v3, s0, s10, v3
	s_delay_alu instid0(VALU_DEP_2) | instskip(NEXT) | instid1(VALU_DEP_3)
	v_add_co_u32 v8, vcc_lo, s6, v4
	v_add_co_ci_u32_e32 v9, vcc_lo, s7, v5, vcc_lo
	v_add_co_ci_u32_e64 v4, null, s11, 0, s0
	s_waitcnt vmcnt(0)
	global_store_b64 v[8:9], v[1:2], off
.LBB22_24:
	s_and_b32 exec_lo, exec_lo, s13
	s_cbranch_execz .LBB22_26
; %bb.25:
	s_waitcnt vmcnt(1)
	global_store_b8 v[3:4], v7, off
.LBB22_26:
	s_nop 0
	s_sendmsg sendmsg(MSG_DEALLOC_VGPRS)
	s_endpgm
	.section	.rodata,"a",@progbits
	.p2align	6, 0x0
	.amdhsa_kernel _ZN7rocprim17ROCPRIM_304000_NS6detail33device_block_merge_oddeven_kernelINS1_37wrapped_merge_sort_block_merge_configINS0_14default_configElN2at4cuda3cub6detail10OpaqueTypeILi1EEEEEPlSC_PSA_SD_jNS1_19radix_merge_compareILb0ELb1ElNS0_19identity_decomposerEEEEEvT0_T1_T2_T3_T4_SL_T5_
		.amdhsa_group_segment_fixed_size 0
		.amdhsa_private_segment_fixed_size 0
		.amdhsa_kernarg_size 48
		.amdhsa_user_sgpr_count 15
		.amdhsa_user_sgpr_dispatch_ptr 0
		.amdhsa_user_sgpr_queue_ptr 0
		.amdhsa_user_sgpr_kernarg_segment_ptr 1
		.amdhsa_user_sgpr_dispatch_id 0
		.amdhsa_user_sgpr_private_segment_size 0
		.amdhsa_wavefront_size32 1
		.amdhsa_uses_dynamic_stack 0
		.amdhsa_enable_private_segment 0
		.amdhsa_system_sgpr_workgroup_id_x 1
		.amdhsa_system_sgpr_workgroup_id_y 0
		.amdhsa_system_sgpr_workgroup_id_z 0
		.amdhsa_system_sgpr_workgroup_info 0
		.amdhsa_system_vgpr_workitem_id 0
		.amdhsa_next_free_vgpr 13
		.amdhsa_next_free_sgpr 20
		.amdhsa_reserve_vcc 1
		.amdhsa_float_round_mode_32 0
		.amdhsa_float_round_mode_16_64 0
		.amdhsa_float_denorm_mode_32 3
		.amdhsa_float_denorm_mode_16_64 3
		.amdhsa_dx10_clamp 1
		.amdhsa_ieee_mode 1
		.amdhsa_fp16_overflow 0
		.amdhsa_workgroup_processor_mode 1
		.amdhsa_memory_ordered 1
		.amdhsa_forward_progress 0
		.amdhsa_shared_vgpr_count 0
		.amdhsa_exception_fp_ieee_invalid_op 0
		.amdhsa_exception_fp_denorm_src 0
		.amdhsa_exception_fp_ieee_div_zero 0
		.amdhsa_exception_fp_ieee_overflow 0
		.amdhsa_exception_fp_ieee_underflow 0
		.amdhsa_exception_fp_ieee_inexact 0
		.amdhsa_exception_int_div_zero 0
	.end_amdhsa_kernel
	.section	.text._ZN7rocprim17ROCPRIM_304000_NS6detail33device_block_merge_oddeven_kernelINS1_37wrapped_merge_sort_block_merge_configINS0_14default_configElN2at4cuda3cub6detail10OpaqueTypeILi1EEEEEPlSC_PSA_SD_jNS1_19radix_merge_compareILb0ELb1ElNS0_19identity_decomposerEEEEEvT0_T1_T2_T3_T4_SL_T5_,"axG",@progbits,_ZN7rocprim17ROCPRIM_304000_NS6detail33device_block_merge_oddeven_kernelINS1_37wrapped_merge_sort_block_merge_configINS0_14default_configElN2at4cuda3cub6detail10OpaqueTypeILi1EEEEEPlSC_PSA_SD_jNS1_19radix_merge_compareILb0ELb1ElNS0_19identity_decomposerEEEEEvT0_T1_T2_T3_T4_SL_T5_,comdat
.Lfunc_end22:
	.size	_ZN7rocprim17ROCPRIM_304000_NS6detail33device_block_merge_oddeven_kernelINS1_37wrapped_merge_sort_block_merge_configINS0_14default_configElN2at4cuda3cub6detail10OpaqueTypeILi1EEEEEPlSC_PSA_SD_jNS1_19radix_merge_compareILb0ELb1ElNS0_19identity_decomposerEEEEEvT0_T1_T2_T3_T4_SL_T5_, .Lfunc_end22-_ZN7rocprim17ROCPRIM_304000_NS6detail33device_block_merge_oddeven_kernelINS1_37wrapped_merge_sort_block_merge_configINS0_14default_configElN2at4cuda3cub6detail10OpaqueTypeILi1EEEEEPlSC_PSA_SD_jNS1_19radix_merge_compareILb0ELb1ElNS0_19identity_decomposerEEEEEvT0_T1_T2_T3_T4_SL_T5_
                                        ; -- End function
	.section	.AMDGPU.csdata,"",@progbits
; Kernel info:
; codeLenInByte = 996
; NumSgprs: 22
; NumVgprs: 13
; ScratchSize: 0
; MemoryBound: 0
; FloatMode: 240
; IeeeMode: 1
; LDSByteSize: 0 bytes/workgroup (compile time only)
; SGPRBlocks: 2
; VGPRBlocks: 1
; NumSGPRsForWavesPerEU: 22
; NumVGPRsForWavesPerEU: 13
; Occupancy: 16
; WaveLimiterHint : 0
; COMPUTE_PGM_RSRC2:SCRATCH_EN: 0
; COMPUTE_PGM_RSRC2:USER_SGPR: 15
; COMPUTE_PGM_RSRC2:TRAP_HANDLER: 0
; COMPUTE_PGM_RSRC2:TGID_X_EN: 1
; COMPUTE_PGM_RSRC2:TGID_Y_EN: 0
; COMPUTE_PGM_RSRC2:TGID_Z_EN: 0
; COMPUTE_PGM_RSRC2:TIDIG_COMP_CNT: 0
	.section	.text._ZN7rocprim17ROCPRIM_304000_NS6detail26onesweep_histograms_kernelINS1_34wrapped_radix_sort_onesweep_configINS0_14default_configElN2at4cuda3cub6detail10OpaqueTypeILi1EEEEELb0EPKlmNS0_19identity_decomposerEEEvT1_PT2_SG_SG_T3_jj,"axG",@progbits,_ZN7rocprim17ROCPRIM_304000_NS6detail26onesweep_histograms_kernelINS1_34wrapped_radix_sort_onesweep_configINS0_14default_configElN2at4cuda3cub6detail10OpaqueTypeILi1EEEEELb0EPKlmNS0_19identity_decomposerEEEvT1_PT2_SG_SG_T3_jj,comdat
	.protected	_ZN7rocprim17ROCPRIM_304000_NS6detail26onesweep_histograms_kernelINS1_34wrapped_radix_sort_onesweep_configINS0_14default_configElN2at4cuda3cub6detail10OpaqueTypeILi1EEEEELb0EPKlmNS0_19identity_decomposerEEEvT1_PT2_SG_SG_T3_jj ; -- Begin function _ZN7rocprim17ROCPRIM_304000_NS6detail26onesweep_histograms_kernelINS1_34wrapped_radix_sort_onesweep_configINS0_14default_configElN2at4cuda3cub6detail10OpaqueTypeILi1EEEEELb0EPKlmNS0_19identity_decomposerEEEvT1_PT2_SG_SG_T3_jj
	.globl	_ZN7rocprim17ROCPRIM_304000_NS6detail26onesweep_histograms_kernelINS1_34wrapped_radix_sort_onesweep_configINS0_14default_configElN2at4cuda3cub6detail10OpaqueTypeILi1EEEEELb0EPKlmNS0_19identity_decomposerEEEvT1_PT2_SG_SG_T3_jj
	.p2align	8
	.type	_ZN7rocprim17ROCPRIM_304000_NS6detail26onesweep_histograms_kernelINS1_34wrapped_radix_sort_onesweep_configINS0_14default_configElN2at4cuda3cub6detail10OpaqueTypeILi1EEEEELb0EPKlmNS0_19identity_decomposerEEEvT1_PT2_SG_SG_T3_jj,@function
_ZN7rocprim17ROCPRIM_304000_NS6detail26onesweep_histograms_kernelINS1_34wrapped_radix_sort_onesweep_configINS0_14default_configElN2at4cuda3cub6detail10OpaqueTypeILi1EEEEELb0EPKlmNS0_19identity_decomposerEEEvT1_PT2_SG_SG_T3_jj: ; @_ZN7rocprim17ROCPRIM_304000_NS6detail26onesweep_histograms_kernelINS1_34wrapped_radix_sort_onesweep_configINS0_14default_configElN2at4cuda3cub6detail10OpaqueTypeILi1EEEEELb0EPKlmNS0_19identity_decomposerEEEvT1_PT2_SG_SG_T3_jj
; %bb.0:
	s_clause 0x1
	s_load_b256 s[16:23], s[0:1], 0x0
	s_load_b64 s[24:25], s[0:1], 0x24
	s_mov_b32 s2, s15
	s_mov_b32 s3, 0
	v_lshlrev_b32_e32 v35, 3, v0
	s_lshl_b64 s[0:1], s[2:3], 15
	s_waitcnt lgkmcnt(0)
	v_cmp_ge_u64_e64 s4, s[2:3], s[22:23]
	s_add_u32 s16, s16, s0
	s_addc_u32 s17, s17, s1
	s_mov_b32 s0, -1
	s_delay_alu instid0(VALU_DEP_1)
	s_and_b32 vcc_lo, exec_lo, s4
	s_cbranch_vccz .LBB23_106
; %bb.1:
	s_lshl_b32 s0, s22, 12
                                        ; implicit-def: $vgpr31_vgpr32
	s_delay_alu instid0(SALU_CYCLE_1) | instskip(SKIP_1) | instid1(VALU_DEP_1)
	s_sub_i32 s15, s20, s0
	v_add_co_u32 v33, s0, s16, v35
	v_add_co_ci_u32_e64 v34, null, s17, 0, s0
	v_cmp_gt_u32_e64 s14, s15, v0
	s_delay_alu instid0(VALU_DEP_1)
	s_and_saveexec_b32 s0, s14
	s_cbranch_execz .LBB23_3
; %bb.2:
	global_load_b64 v[31:32], v[33:34], off
.LBB23_3:
	s_or_b32 exec_lo, exec_lo, s0
	v_or_b32_e32 v1, 0x100, v0
                                        ; implicit-def: $vgpr29_vgpr30
	s_delay_alu instid0(VALU_DEP_1) | instskip(NEXT) | instid1(VALU_DEP_1)
	v_cmp_gt_u32_e64 s13, s15, v1
	s_and_saveexec_b32 s0, s13
	s_cbranch_execz .LBB23_5
; %bb.4:
	global_load_b64 v[29:30], v[33:34], off offset:2048
.LBB23_5:
	s_or_b32 exec_lo, exec_lo, s0
	v_or_b32_e32 v1, 0x200, v0
                                        ; implicit-def: $vgpr27_vgpr28
	s_delay_alu instid0(VALU_DEP_1) | instskip(NEXT) | instid1(VALU_DEP_1)
	v_cmp_gt_u32_e64 s12, s15, v1
	s_and_saveexec_b32 s0, s12
	s_cbranch_execz .LBB23_7
; %bb.6:
	v_add_co_u32 v1, vcc_lo, 0x1000, v33
	v_add_co_ci_u32_e32 v2, vcc_lo, 0, v34, vcc_lo
	global_load_b64 v[27:28], v[1:2], off
.LBB23_7:
	s_or_b32 exec_lo, exec_lo, s0
	v_or_b32_e32 v1, 0x300, v0
                                        ; implicit-def: $vgpr25_vgpr26
	s_delay_alu instid0(VALU_DEP_1) | instskip(NEXT) | instid1(VALU_DEP_1)
	v_cmp_gt_u32_e64 s11, s15, v1
	s_and_saveexec_b32 s0, s11
	s_cbranch_execz .LBB23_9
; %bb.8:
	v_add_co_u32 v1, vcc_lo, 0x1000, v33
	v_add_co_ci_u32_e32 v2, vcc_lo, 0, v34, vcc_lo
	global_load_b64 v[25:26], v[1:2], off offset:2048
.LBB23_9:
	s_or_b32 exec_lo, exec_lo, s0
	v_or_b32_e32 v1, 0x400, v0
                                        ; implicit-def: $vgpr23_vgpr24
	s_delay_alu instid0(VALU_DEP_1) | instskip(NEXT) | instid1(VALU_DEP_1)
	v_cmp_gt_u32_e64 s10, s15, v1
	s_and_saveexec_b32 s0, s10
	s_cbranch_execz .LBB23_11
; %bb.10:
	v_add_co_u32 v1, vcc_lo, 0x2000, v33
	v_add_co_ci_u32_e32 v2, vcc_lo, 0, v34, vcc_lo
	global_load_b64 v[23:24], v[1:2], off
.LBB23_11:
	s_or_b32 exec_lo, exec_lo, s0
	v_or_b32_e32 v1, 0x500, v0
                                        ; implicit-def: $vgpr21_vgpr22
	s_delay_alu instid0(VALU_DEP_1) | instskip(NEXT) | instid1(VALU_DEP_1)
	v_cmp_gt_u32_e64 s9, s15, v1
	s_and_saveexec_b32 s0, s9
	s_cbranch_execz .LBB23_13
; %bb.12:
	v_add_co_u32 v1, vcc_lo, 0x2000, v33
	v_add_co_ci_u32_e32 v2, vcc_lo, 0, v34, vcc_lo
	global_load_b64 v[21:22], v[1:2], off offset:2048
.LBB23_13:
	s_or_b32 exec_lo, exec_lo, s0
	v_or_b32_e32 v1, 0x600, v0
                                        ; implicit-def: $vgpr19_vgpr20
	s_delay_alu instid0(VALU_DEP_1) | instskip(NEXT) | instid1(VALU_DEP_1)
	v_cmp_gt_u32_e64 s8, s15, v1
	s_and_saveexec_b32 s0, s8
	s_cbranch_execz .LBB23_15
; %bb.14:
	v_add_co_u32 v1, vcc_lo, 0x3000, v33
	v_add_co_ci_u32_e32 v2, vcc_lo, 0, v34, vcc_lo
	global_load_b64 v[19:20], v[1:2], off
.LBB23_15:
	s_or_b32 exec_lo, exec_lo, s0
	v_or_b32_e32 v1, 0x700, v0
                                        ; implicit-def: $vgpr17_vgpr18
	s_delay_alu instid0(VALU_DEP_1) | instskip(NEXT) | instid1(VALU_DEP_1)
	v_cmp_gt_u32_e64 s7, s15, v1
	s_and_saveexec_b32 s0, s7
	s_cbranch_execz .LBB23_17
; %bb.16:
	v_add_co_u32 v1, vcc_lo, 0x3000, v33
	v_add_co_ci_u32_e32 v2, vcc_lo, 0, v34, vcc_lo
	global_load_b64 v[17:18], v[1:2], off offset:2048
.LBB23_17:
	s_or_b32 exec_lo, exec_lo, s0
	v_or_b32_e32 v1, 0x800, v0
                                        ; implicit-def: $vgpr15_vgpr16
	s_delay_alu instid0(VALU_DEP_1) | instskip(NEXT) | instid1(VALU_DEP_1)
	v_cmp_gt_u32_e64 s6, s15, v1
	s_and_saveexec_b32 s0, s6
	s_cbranch_execz .LBB23_19
; %bb.18:
	v_add_co_u32 v1, vcc_lo, 0x4000, v33
	v_add_co_ci_u32_e32 v2, vcc_lo, 0, v34, vcc_lo
	global_load_b64 v[15:16], v[1:2], off
.LBB23_19:
	s_or_b32 exec_lo, exec_lo, s0
	v_or_b32_e32 v1, 0x900, v0
                                        ; implicit-def: $vgpr13_vgpr14
	s_delay_alu instid0(VALU_DEP_1) | instskip(NEXT) | instid1(VALU_DEP_1)
	v_cmp_gt_u32_e64 s5, s15, v1
	s_and_saveexec_b32 s0, s5
	s_cbranch_execz .LBB23_21
; %bb.20:
	v_add_co_u32 v1, vcc_lo, 0x4000, v33
	v_add_co_ci_u32_e32 v2, vcc_lo, 0, v34, vcc_lo
	global_load_b64 v[13:14], v[1:2], off offset:2048
.LBB23_21:
	s_or_b32 exec_lo, exec_lo, s0
	v_or_b32_e32 v1, 0xa00, v0
                                        ; implicit-def: $vgpr11_vgpr12
	s_delay_alu instid0(VALU_DEP_1) | instskip(NEXT) | instid1(VALU_DEP_1)
	v_cmp_gt_u32_e64 s4, s15, v1
	s_and_saveexec_b32 s0, s4
	s_cbranch_execz .LBB23_23
; %bb.22:
	v_add_co_u32 v1, vcc_lo, 0x5000, v33
	v_add_co_ci_u32_e32 v2, vcc_lo, 0, v34, vcc_lo
	global_load_b64 v[11:12], v[1:2], off
.LBB23_23:
	s_or_b32 exec_lo, exec_lo, s0
	v_or_b32_e32 v1, 0xb00, v0
                                        ; implicit-def: $vgpr9_vgpr10
	s_delay_alu instid0(VALU_DEP_1) | instskip(NEXT) | instid1(VALU_DEP_1)
	v_cmp_gt_u32_e64 s3, s15, v1
	s_and_saveexec_b32 s0, s3
	s_cbranch_execz .LBB23_25
; %bb.24:
	v_add_co_u32 v1, vcc_lo, 0x5000, v33
	v_add_co_ci_u32_e32 v2, vcc_lo, 0, v34, vcc_lo
	global_load_b64 v[9:10], v[1:2], off offset:2048
	s_waitcnt vmcnt(0)
	v_xor_b32_e32 v10, 0x80000000, v10
.LBB23_25:
	s_or_b32 exec_lo, exec_lo, s0
	v_or_b32_e32 v1, 0xc00, v0
                                        ; implicit-def: $vgpr7_vgpr8
	s_delay_alu instid0(VALU_DEP_1) | instskip(NEXT) | instid1(VALU_DEP_1)
	v_cmp_gt_u32_e64 s2, s15, v1
	s_and_saveexec_b32 s0, s2
	s_cbranch_execz .LBB23_27
; %bb.26:
	v_add_co_u32 v1, vcc_lo, 0x6000, v33
	v_add_co_ci_u32_e32 v2, vcc_lo, 0, v34, vcc_lo
	global_load_b64 v[7:8], v[1:2], off
	s_waitcnt vmcnt(0)
	v_xor_b32_e32 v8, 0x80000000, v8
.LBB23_27:
	s_or_b32 exec_lo, exec_lo, s0
	v_or_b32_e32 v1, 0xd00, v0
                                        ; implicit-def: $vgpr5_vgpr6
	s_delay_alu instid0(VALU_DEP_1) | instskip(NEXT) | instid1(VALU_DEP_1)
	v_cmp_gt_u32_e64 s1, s15, v1
	s_and_saveexec_b32 s0, s1
	s_cbranch_execz .LBB23_29
; %bb.28:
	v_add_co_u32 v1, vcc_lo, 0x6000, v33
	v_add_co_ci_u32_e32 v2, vcc_lo, 0, v34, vcc_lo
	global_load_b64 v[5:6], v[1:2], off offset:2048
	s_waitcnt vmcnt(0)
	v_xor_b32_e32 v6, 0x80000000, v6
.LBB23_29:
	s_or_b32 exec_lo, exec_lo, s0
	v_or_b32_e32 v1, 0xe00, v0
                                        ; implicit-def: $vgpr3_vgpr4
	s_delay_alu instid0(VALU_DEP_1) | instskip(NEXT) | instid1(VALU_DEP_1)
	v_cmp_gt_u32_e64 s0, s15, v1
	s_and_saveexec_b32 s20, s0
	s_cbranch_execz .LBB23_31
; %bb.30:
	v_add_co_u32 v1, vcc_lo, 0x7000, v33
	v_add_co_ci_u32_e32 v2, vcc_lo, 0, v34, vcc_lo
	global_load_b64 v[3:4], v[1:2], off
	s_waitcnt vmcnt(0)
	v_xor_b32_e32 v4, 0x80000000, v4
.LBB23_31:
	s_or_b32 exec_lo, exec_lo, s20
	v_or_b32_e32 v1, 0xf00, v0
	s_delay_alu instid0(VALU_DEP_1)
	v_cmp_gt_u32_e32 vcc_lo, s15, v1
                                        ; implicit-def: $vgpr1_vgpr2
	s_and_saveexec_b32 s20, vcc_lo
	s_cbranch_execz .LBB23_33
; %bb.32:
	v_add_co_u32 v1, s15, 0x7000, v33
	s_delay_alu instid0(VALU_DEP_1)
	v_add_co_ci_u32_e64 v2, s15, 0, v34, s15
	global_load_b64 v[1:2], v[1:2], off offset:2048
	s_waitcnt vmcnt(0)
	v_xor_b32_e32 v2, 0x80000000, v2
.LBB23_33:
	s_or_b32 exec_lo, exec_lo, s20
	v_or_b32_e32 v33, 0xffffff00, v0
	v_lshlrev_b32_e32 v34, 2, v0
	v_mov_b32_e32 v36, 0
	s_mov_b32 s20, 0
.LBB23_34:                              ; =>This Inner Loop Header: Depth=1
	s_delay_alu instid0(VALU_DEP_3) | instskip(SKIP_3) | instid1(VALU_DEP_1)
	v_add_nc_u32_e32 v33, 0x100, v33
	ds_store_b32 v34, v36
	v_add_nc_u32_e32 v34, 0x400, v34
	v_cmp_lt_u32_e64 s15, 0x1eff, v33
	s_or_b32 s20, s15, s20
	s_delay_alu instid0(SALU_CYCLE_1)
	s_and_not1_b32 exec_lo, exec_lo, s20
	s_cbranch_execnz .LBB23_34
; %bb.35:
	s_or_b32 exec_lo, exec_lo, s20
	s_cmp_gt_u32 s25, s24
	s_waitcnt vmcnt(0) lgkmcnt(0)
	s_cselect_b32 s15, -1, 0
	s_cmp_le_u32 s25, s24
	s_barrier
	buffer_gl0_inv
	s_cbranch_scc1 .LBB23_100
; %bb.36:
	v_dual_mov_b32 v34, 1 :: v_dual_and_b32 v33, 3, v0
	v_xor_b32_e32 v32, 0x80000000, v32
	s_sub_i32 s20, s25, s24
	s_mov_b32 s22, s24
	s_delay_alu instid0(VALU_DEP_2) | instskip(SKIP_1) | instid1(VALU_DEP_1)
	v_lshlrev_b32_e32 v33, 2, v33
	s_mov_b32 s21, s20
	v_mov_b32_e32 v36, v33
	s_branch .LBB23_38
	.p2align	6
.LBB23_37:                              ;   in Loop: Header=BB23_38 Depth=1
	s_or_b32 exec_lo, exec_lo, s23
	v_add_nc_u32_e32 v36, 0x1000, v36
	s_add_i32 s22, s22, 8
	s_add_i32 s21, s21, -8
	s_cmp_lt_u32 s22, s25
	s_cbranch_scc0 .LBB23_40
.LBB23_38:                              ; =>This Inner Loop Header: Depth=1
	s_and_saveexec_b32 s23, s14
	s_cbranch_execz .LBB23_37
; %bb.39:                               ;   in Loop: Header=BB23_38 Depth=1
	v_lshrrev_b64 v[37:38], s22, v[31:32]
	s_min_u32 s26, s21, 8
	s_delay_alu instid0(VALU_DEP_1) | instid1(SALU_CYCLE_1)
	v_bfe_u32 v37, v37, 0, s26
	s_delay_alu instid0(VALU_DEP_1)
	v_lshl_add_u32 v37, v37, 4, v36
	ds_add_u32 v37, v34
	s_branch .LBB23_37
.LBB23_40:
	v_xor_b32_e32 v30, 0x80000000, v30
	v_dual_mov_b32 v31, 1 :: v_dual_mov_b32 v32, v33
	s_mov_b32 s14, s20
	s_mov_b32 s21, s24
	s_branch .LBB23_42
	.p2align	6
.LBB23_41:                              ;   in Loop: Header=BB23_42 Depth=1
	s_or_b32 exec_lo, exec_lo, s22
	v_add_nc_u32_e32 v32, 0x1000, v32
	s_add_i32 s21, s21, 8
	s_add_i32 s14, s14, -8
	s_cmp_lt_u32 s21, s25
	s_cbranch_scc0 .LBB23_44
.LBB23_42:                              ; =>This Inner Loop Header: Depth=1
	s_and_saveexec_b32 s22, s13
	s_cbranch_execz .LBB23_41
; %bb.43:                               ;   in Loop: Header=BB23_42 Depth=1
	v_lshrrev_b64 v[36:37], s21, v[29:30]
	s_min_u32 s23, s14, 8
	s_delay_alu instid0(VALU_DEP_1) | instid1(SALU_CYCLE_1)
	v_bfe_u32 v34, v36, 0, s23
	s_delay_alu instid0(VALU_DEP_1)
	v_lshl_add_u32 v34, v34, 4, v32
	ds_add_u32 v34, v31
	s_branch .LBB23_41
.LBB23_44:
	v_xor_b32_e32 v28, 0x80000000, v28
	v_dual_mov_b32 v29, 1 :: v_dual_mov_b32 v30, v33
	s_mov_b32 s13, s20
	s_mov_b32 s14, s24
	s_branch .LBB23_46
	.p2align	6
.LBB23_45:                              ;   in Loop: Header=BB23_46 Depth=1
	s_or_b32 exec_lo, exec_lo, s21
	v_add_nc_u32_e32 v30, 0x1000, v30
	s_add_i32 s14, s14, 8
	s_add_i32 s13, s13, -8
	s_cmp_lt_u32 s14, s25
	s_cbranch_scc0 .LBB23_48
.LBB23_46:                              ; =>This Inner Loop Header: Depth=1
	s_and_saveexec_b32 s21, s12
	s_cbranch_execz .LBB23_45
; %bb.47:                               ;   in Loop: Header=BB23_46 Depth=1
	v_lshrrev_b64 v[31:32], s14, v[27:28]
	s_min_u32 s22, s13, 8
	s_delay_alu instid0(VALU_DEP_1) | instid1(SALU_CYCLE_1)
	v_bfe_u32 v31, v31, 0, s22
	s_delay_alu instid0(VALU_DEP_1)
	v_lshl_add_u32 v31, v31, 4, v30
	ds_add_u32 v31, v29
	s_branch .LBB23_45
.LBB23_48:
	v_xor_b32_e32 v26, 0x80000000, v26
	v_dual_mov_b32 v27, 1 :: v_dual_mov_b32 v28, v33
	s_mov_b32 s12, s20
	s_mov_b32 s13, s24
	s_branch .LBB23_50
	.p2align	6
.LBB23_49:                              ;   in Loop: Header=BB23_50 Depth=1
	s_or_b32 exec_lo, exec_lo, s14
	v_add_nc_u32_e32 v28, 0x1000, v28
	s_add_i32 s13, s13, 8
	s_add_i32 s12, s12, -8
	s_cmp_lt_u32 s13, s25
	s_cbranch_scc0 .LBB23_52
.LBB23_50:                              ; =>This Inner Loop Header: Depth=1
	s_and_saveexec_b32 s14, s11
	s_cbranch_execz .LBB23_49
; %bb.51:                               ;   in Loop: Header=BB23_50 Depth=1
	v_lshrrev_b64 v[29:30], s13, v[25:26]
	s_min_u32 s21, s12, 8
	s_delay_alu instid0(VALU_DEP_1) | instid1(SALU_CYCLE_1)
	v_bfe_u32 v29, v29, 0, s21
	s_delay_alu instid0(VALU_DEP_1)
	v_lshl_add_u32 v29, v29, 4, v28
	ds_add_u32 v29, v27
	s_branch .LBB23_49
.LBB23_52:
	v_xor_b32_e32 v24, 0x80000000, v24
	v_dual_mov_b32 v25, 1 :: v_dual_mov_b32 v26, v33
	s_mov_b32 s11, s20
	s_mov_b32 s12, s24
	s_branch .LBB23_54
	.p2align	6
.LBB23_53:                              ;   in Loop: Header=BB23_54 Depth=1
	s_or_b32 exec_lo, exec_lo, s13
	v_add_nc_u32_e32 v26, 0x1000, v26
	s_add_i32 s12, s12, 8
	s_add_i32 s11, s11, -8
	s_cmp_lt_u32 s12, s25
	s_cbranch_scc0 .LBB23_56
.LBB23_54:                              ; =>This Inner Loop Header: Depth=1
	s_and_saveexec_b32 s13, s10
	s_cbranch_execz .LBB23_53
; %bb.55:                               ;   in Loop: Header=BB23_54 Depth=1
	v_lshrrev_b64 v[27:28], s12, v[23:24]
	s_min_u32 s14, s11, 8
	s_delay_alu instid0(VALU_DEP_1) | instid1(SALU_CYCLE_1)
	v_bfe_u32 v27, v27, 0, s14
	s_delay_alu instid0(VALU_DEP_1)
	v_lshl_add_u32 v27, v27, 4, v26
	ds_add_u32 v27, v25
	s_branch .LBB23_53
.LBB23_56:
	v_xor_b32_e32 v22, 0x80000000, v22
	v_dual_mov_b32 v23, 1 :: v_dual_mov_b32 v24, v33
	s_mov_b32 s10, s20
	s_mov_b32 s11, s24
	s_branch .LBB23_58
	.p2align	6
.LBB23_57:                              ;   in Loop: Header=BB23_58 Depth=1
	s_or_b32 exec_lo, exec_lo, s12
	v_add_nc_u32_e32 v24, 0x1000, v24
	s_add_i32 s11, s11, 8
	s_add_i32 s10, s10, -8
	s_cmp_lt_u32 s11, s25
	s_cbranch_scc0 .LBB23_60
.LBB23_58:                              ; =>This Inner Loop Header: Depth=1
	s_and_saveexec_b32 s12, s9
	s_cbranch_execz .LBB23_57
; %bb.59:                               ;   in Loop: Header=BB23_58 Depth=1
	v_lshrrev_b64 v[25:26], s11, v[21:22]
	s_min_u32 s13, s10, 8
	s_delay_alu instid0(VALU_DEP_1) | instid1(SALU_CYCLE_1)
	v_bfe_u32 v25, v25, 0, s13
	s_delay_alu instid0(VALU_DEP_1)
	v_lshl_add_u32 v25, v25, 4, v24
	ds_add_u32 v25, v23
	s_branch .LBB23_57
.LBB23_60:
	v_xor_b32_e32 v20, 0x80000000, v20
	v_dual_mov_b32 v21, 1 :: v_dual_mov_b32 v22, v33
	s_mov_b32 s9, s20
	s_mov_b32 s10, s24
	s_branch .LBB23_62
	.p2align	6
.LBB23_61:                              ;   in Loop: Header=BB23_62 Depth=1
	s_or_b32 exec_lo, exec_lo, s11
	v_add_nc_u32_e32 v22, 0x1000, v22
	s_add_i32 s10, s10, 8
	s_add_i32 s9, s9, -8
	s_cmp_lt_u32 s10, s25
	s_cbranch_scc0 .LBB23_64
.LBB23_62:                              ; =>This Inner Loop Header: Depth=1
	s_and_saveexec_b32 s11, s8
	s_cbranch_execz .LBB23_61
; %bb.63:                               ;   in Loop: Header=BB23_62 Depth=1
	v_lshrrev_b64 v[23:24], s10, v[19:20]
	s_min_u32 s12, s9, 8
	s_delay_alu instid0(VALU_DEP_1) | instid1(SALU_CYCLE_1)
	v_bfe_u32 v23, v23, 0, s12
	s_delay_alu instid0(VALU_DEP_1)
	v_lshl_add_u32 v23, v23, 4, v22
	ds_add_u32 v23, v21
	s_branch .LBB23_61
.LBB23_64:
	v_xor_b32_e32 v18, 0x80000000, v18
	v_dual_mov_b32 v19, 1 :: v_dual_mov_b32 v20, v33
	s_mov_b32 s8, s20
	s_mov_b32 s9, s24
	s_branch .LBB23_66
	.p2align	6
.LBB23_65:                              ;   in Loop: Header=BB23_66 Depth=1
	s_or_b32 exec_lo, exec_lo, s10
	v_add_nc_u32_e32 v20, 0x1000, v20
	s_add_i32 s9, s9, 8
	s_add_i32 s8, s8, -8
	s_cmp_lt_u32 s9, s25
	s_cbranch_scc0 .LBB23_68
.LBB23_66:                              ; =>This Inner Loop Header: Depth=1
	s_and_saveexec_b32 s10, s7
	s_cbranch_execz .LBB23_65
; %bb.67:                               ;   in Loop: Header=BB23_66 Depth=1
	v_lshrrev_b64 v[21:22], s9, v[17:18]
	s_min_u32 s11, s8, 8
	s_delay_alu instid0(VALU_DEP_1) | instid1(SALU_CYCLE_1)
	v_bfe_u32 v21, v21, 0, s11
	s_delay_alu instid0(VALU_DEP_1)
	v_lshl_add_u32 v21, v21, 4, v20
	ds_add_u32 v21, v19
	s_branch .LBB23_65
.LBB23_68:
	v_xor_b32_e32 v16, 0x80000000, v16
	v_dual_mov_b32 v17, 1 :: v_dual_mov_b32 v18, v33
	s_mov_b32 s7, s20
	s_mov_b32 s8, s24
	s_branch .LBB23_70
	.p2align	6
.LBB23_69:                              ;   in Loop: Header=BB23_70 Depth=1
	s_or_b32 exec_lo, exec_lo, s9
	v_add_nc_u32_e32 v18, 0x1000, v18
	s_add_i32 s8, s8, 8
	s_add_i32 s7, s7, -8
	s_cmp_lt_u32 s8, s25
	s_cbranch_scc0 .LBB23_72
.LBB23_70:                              ; =>This Inner Loop Header: Depth=1
	s_and_saveexec_b32 s9, s6
	s_cbranch_execz .LBB23_69
; %bb.71:                               ;   in Loop: Header=BB23_70 Depth=1
	v_lshrrev_b64 v[19:20], s8, v[15:16]
	s_min_u32 s10, s7, 8
	s_delay_alu instid0(VALU_DEP_1) | instid1(SALU_CYCLE_1)
	v_bfe_u32 v19, v19, 0, s10
	s_delay_alu instid0(VALU_DEP_1)
	v_lshl_add_u32 v19, v19, 4, v18
	ds_add_u32 v19, v17
	s_branch .LBB23_69
.LBB23_72:
	v_xor_b32_e32 v14, 0x80000000, v14
	v_dual_mov_b32 v15, 1 :: v_dual_mov_b32 v16, v33
	s_mov_b32 s6, s20
	s_mov_b32 s7, s24
	s_branch .LBB23_74
	.p2align	6
.LBB23_73:                              ;   in Loop: Header=BB23_74 Depth=1
	s_or_b32 exec_lo, exec_lo, s8
	v_add_nc_u32_e32 v16, 0x1000, v16
	s_add_i32 s7, s7, 8
	s_add_i32 s6, s6, -8
	s_cmp_lt_u32 s7, s25
	s_cbranch_scc0 .LBB23_76
.LBB23_74:                              ; =>This Inner Loop Header: Depth=1
	s_and_saveexec_b32 s8, s5
	s_cbranch_execz .LBB23_73
; %bb.75:                               ;   in Loop: Header=BB23_74 Depth=1
	v_lshrrev_b64 v[17:18], s7, v[13:14]
	s_min_u32 s9, s6, 8
	s_delay_alu instid0(VALU_DEP_1) | instid1(SALU_CYCLE_1)
	v_bfe_u32 v17, v17, 0, s9
	s_delay_alu instid0(VALU_DEP_1)
	v_lshl_add_u32 v17, v17, 4, v16
	ds_add_u32 v17, v15
	s_branch .LBB23_73
.LBB23_76:
	v_xor_b32_e32 v12, 0x80000000, v12
	v_dual_mov_b32 v13, 1 :: v_dual_mov_b32 v14, v33
	s_mov_b32 s5, s20
	s_mov_b32 s6, s24
	s_branch .LBB23_78
	.p2align	6
.LBB23_77:                              ;   in Loop: Header=BB23_78 Depth=1
	s_or_b32 exec_lo, exec_lo, s7
	v_add_nc_u32_e32 v14, 0x1000, v14
	s_add_i32 s6, s6, 8
	s_add_i32 s5, s5, -8
	s_cmp_lt_u32 s6, s25
	s_cbranch_scc0 .LBB23_80
.LBB23_78:                              ; =>This Inner Loop Header: Depth=1
	s_and_saveexec_b32 s7, s4
	s_cbranch_execz .LBB23_77
; %bb.79:                               ;   in Loop: Header=BB23_78 Depth=1
	v_lshrrev_b64 v[15:16], s6, v[11:12]
	s_min_u32 s8, s5, 8
	s_delay_alu instid0(VALU_DEP_1) | instid1(SALU_CYCLE_1)
	v_bfe_u32 v15, v15, 0, s8
	s_delay_alu instid0(VALU_DEP_1)
	v_lshl_add_u32 v15, v15, 4, v14
	ds_add_u32 v15, v13
	s_branch .LBB23_77
.LBB23_80:
	v_dual_mov_b32 v11, 1 :: v_dual_mov_b32 v12, v33
	s_mov_b32 s4, s20
	s_mov_b32 s5, s24
	s_branch .LBB23_82
	.p2align	6
.LBB23_81:                              ;   in Loop: Header=BB23_82 Depth=1
	s_or_b32 exec_lo, exec_lo, s6
	v_add_nc_u32_e32 v12, 0x1000, v12
	s_add_i32 s5, s5, 8
	s_add_i32 s4, s4, -8
	s_cmp_lt_u32 s5, s25
	s_cbranch_scc0 .LBB23_84
.LBB23_82:                              ; =>This Inner Loop Header: Depth=1
	s_and_saveexec_b32 s6, s3
	s_cbranch_execz .LBB23_81
; %bb.83:                               ;   in Loop: Header=BB23_82 Depth=1
	v_lshrrev_b64 v[13:14], s5, v[9:10]
	s_min_u32 s7, s4, 8
	s_delay_alu instid0(VALU_DEP_1) | instid1(SALU_CYCLE_1)
	v_bfe_u32 v13, v13, 0, s7
	s_delay_alu instid0(VALU_DEP_1)
	v_lshl_add_u32 v13, v13, 4, v12
	ds_add_u32 v13, v11
	s_branch .LBB23_81
.LBB23_84:
	v_dual_mov_b32 v9, 1 :: v_dual_mov_b32 v10, v33
	s_mov_b32 s3, s20
	s_mov_b32 s4, s24
	s_branch .LBB23_86
	.p2align	6
.LBB23_85:                              ;   in Loop: Header=BB23_86 Depth=1
	s_or_b32 exec_lo, exec_lo, s5
	v_add_nc_u32_e32 v10, 0x1000, v10
	s_add_i32 s4, s4, 8
	s_add_i32 s3, s3, -8
	s_cmp_lt_u32 s4, s25
	s_cbranch_scc0 .LBB23_88
.LBB23_86:                              ; =>This Inner Loop Header: Depth=1
	s_and_saveexec_b32 s5, s2
	s_cbranch_execz .LBB23_85
; %bb.87:                               ;   in Loop: Header=BB23_86 Depth=1
	v_lshrrev_b64 v[11:12], s4, v[7:8]
	s_min_u32 s6, s3, 8
	s_delay_alu instid0(VALU_DEP_1) | instid1(SALU_CYCLE_1)
	v_bfe_u32 v11, v11, 0, s6
	s_delay_alu instid0(VALU_DEP_1)
	v_lshl_add_u32 v11, v11, 4, v10
	ds_add_u32 v11, v9
	s_branch .LBB23_85
.LBB23_88:
	v_dual_mov_b32 v7, 1 :: v_dual_mov_b32 v8, v33
	s_mov_b32 s2, s20
	s_mov_b32 s3, s24
	s_branch .LBB23_90
	.p2align	6
.LBB23_89:                              ;   in Loop: Header=BB23_90 Depth=1
	s_or_b32 exec_lo, exec_lo, s4
	v_add_nc_u32_e32 v8, 0x1000, v8
	s_add_i32 s3, s3, 8
	s_add_i32 s2, s2, -8
	s_cmp_lt_u32 s3, s25
	s_cbranch_scc0 .LBB23_92
.LBB23_90:                              ; =>This Inner Loop Header: Depth=1
	s_and_saveexec_b32 s4, s1
	s_cbranch_execz .LBB23_89
; %bb.91:                               ;   in Loop: Header=BB23_90 Depth=1
	v_lshrrev_b64 v[9:10], s3, v[5:6]
	s_min_u32 s5, s2, 8
	s_delay_alu instid0(VALU_DEP_1) | instid1(SALU_CYCLE_1)
	v_bfe_u32 v9, v9, 0, s5
	s_delay_alu instid0(VALU_DEP_1)
	v_lshl_add_u32 v9, v9, 4, v8
	ds_add_u32 v9, v7
	s_branch .LBB23_89
.LBB23_92:
	v_dual_mov_b32 v5, 1 :: v_dual_mov_b32 v6, v33
	s_mov_b32 s1, s20
	s_mov_b32 s2, s24
	s_branch .LBB23_94
	.p2align	6
.LBB23_93:                              ;   in Loop: Header=BB23_94 Depth=1
	s_or_b32 exec_lo, exec_lo, s3
	v_add_nc_u32_e32 v6, 0x1000, v6
	s_add_i32 s2, s2, 8
	s_add_i32 s1, s1, -8
	s_cmp_lt_u32 s2, s25
	s_cbranch_scc0 .LBB23_96
.LBB23_94:                              ; =>This Inner Loop Header: Depth=1
	s_and_saveexec_b32 s3, s0
	s_cbranch_execz .LBB23_93
; %bb.95:                               ;   in Loop: Header=BB23_94 Depth=1
	v_lshrrev_b64 v[7:8], s2, v[3:4]
	s_min_u32 s4, s1, 8
	s_delay_alu instid0(VALU_DEP_1) | instid1(SALU_CYCLE_1)
	v_bfe_u32 v7, v7, 0, s4
	s_delay_alu instid0(VALU_DEP_1)
	v_lshl_add_u32 v7, v7, 4, v6
	ds_add_u32 v7, v5
	s_branch .LBB23_93
.LBB23_96:
	v_mov_b32_e32 v3, 1
	s_mov_b32 s0, s24
	s_branch .LBB23_98
	.p2align	6
.LBB23_97:                              ;   in Loop: Header=BB23_98 Depth=1
	s_or_b32 exec_lo, exec_lo, s1
	v_add_nc_u32_e32 v33, 0x1000, v33
	s_add_i32 s0, s0, 8
	s_add_i32 s20, s20, -8
	s_cmp_lt_u32 s0, s25
	s_cbranch_scc0 .LBB23_100
.LBB23_98:                              ; =>This Inner Loop Header: Depth=1
	s_and_saveexec_b32 s1, vcc_lo
	s_cbranch_execz .LBB23_97
; %bb.99:                               ;   in Loop: Header=BB23_98 Depth=1
	v_lshrrev_b64 v[4:5], s0, v[1:2]
	s_min_u32 s2, s20, 8
	s_delay_alu instid0(VALU_DEP_1) | instid1(SALU_CYCLE_1)
	v_bfe_u32 v4, v4, 0, s2
	s_delay_alu instid0(VALU_DEP_1)
	v_lshl_add_u32 v4, v4, 4, v33
	ds_add_u32 v4, v3
	s_branch .LBB23_97
.LBB23_100:
	s_and_b32 vcc_lo, exec_lo, s15
	s_waitcnt lgkmcnt(0)
	s_barrier
	buffer_gl0_inv
	s_cbranch_vccz .LBB23_105
; %bb.101:
	v_cmp_gt_u32_e32 vcc_lo, 0x100, v0
	v_dual_mov_b32 v2, 0 :: v_dual_lshlrev_b32 v3, 4, v0
	v_mov_b32_e32 v1, v0
	s_mov_b32 s1, s24
	s_set_inst_prefetch_distance 0x1
	s_branch .LBB23_103
	.p2align	6
.LBB23_102:                             ;   in Loop: Header=BB23_103 Depth=1
	s_or_b32 exec_lo, exec_lo, s2
	v_add_nc_u32_e32 v1, 0x100, v1
	v_add_nc_u32_e32 v3, 0x1000, v3
	s_add_i32 s1, s1, 8
	s_delay_alu instid0(SALU_CYCLE_1)
	s_cmp_lt_u32 s1, s25
	s_cbranch_scc0 .LBB23_105
.LBB23_103:                             ; =>This Inner Loop Header: Depth=1
	s_and_saveexec_b32 s2, vcc_lo
	s_cbranch_execz .LBB23_102
; %bb.104:                              ;   in Loop: Header=BB23_103 Depth=1
	ds_load_2addr_b32 v[4:5], v3 offset1:1
	ds_load_2addr_b32 v[6:7], v3 offset0:2 offset1:3
	v_lshlrev_b64 v[8:9], 3, v[1:2]
	s_waitcnt lgkmcnt(1)
	v_add_nc_u32_e32 v10, v5, v4
	s_delay_alu instid0(VALU_DEP_2) | instskip(NEXT) | instid1(VALU_DEP_1)
	v_add_co_u32 v4, s0, s18, v8
	v_add_co_ci_u32_e64 v5, s0, s19, v9, s0
	s_waitcnt lgkmcnt(0)
	s_delay_alu instid0(VALU_DEP_3)
	v_add3_u32 v6, v10, v6, v7
	v_mov_b32_e32 v7, v2
	global_atomic_add_u64 v[4:5], v[6:7], off
	s_branch .LBB23_102
.LBB23_105:
	s_set_inst_prefetch_distance 0x2
	s_mov_b32 s0, 0
.LBB23_106:
	s_delay_alu instid0(SALU_CYCLE_1)
	s_and_b32 vcc_lo, exec_lo, s0
	s_cbranch_vccz .LBB23_154
; %bb.107:
	v_add_co_u32 v31, s0, s16, v35
	s_delay_alu instid0(VALU_DEP_1)
	v_add_co_ci_u32_e64 v32, null, s17, 0, s0
	global_load_b64 v[29:30], v35, s[16:17] offset:2048
	v_add_co_u32 v1, vcc_lo, 0x1000, v31
	v_add_co_ci_u32_e32 v2, vcc_lo, 0, v32, vcc_lo
	v_add_co_u32 v3, vcc_lo, v31, 0x2000
	v_add_co_ci_u32_e32 v4, vcc_lo, 0, v32, vcc_lo
	;; [unrolled: 2-line block ×6, first 2 shown]
	s_clause 0x7
	global_load_b64 v[27:28], v[3:4], off offset:-4096
	global_load_b64 v[23:24], v[3:4], off
	global_load_b64 v[19:20], v[9:10], off offset:-4096
	global_load_b64 v[15:16], v[9:10], off
	global_load_b64 v[25:26], v[1:2], off offset:2048
	global_load_b64 v[21:22], v[5:6], off offset:2048
	;; [unrolled: 1-line block ×4, first 2 shown]
	v_add_co_u32 v1, vcc_lo, v31, 0x6000
	v_add_co_ci_u32_e32 v2, vcc_lo, 0, v32, vcc_lo
	v_add_co_u32 v3, vcc_lo, 0x5000, v31
	v_add_co_ci_u32_e32 v4, vcc_lo, 0, v32, vcc_lo
	;; [unrolled: 2-line block ×4, first 2 shown]
	s_clause 0x6
	global_load_b64 v[11:12], v[1:2], off offset:-4096
	global_load_b64 v[31:32], v35, s[16:17]
	global_load_b64 v[7:8], v[1:2], off
	global_load_b64 v[9:10], v[3:4], off offset:2048
	global_load_b64 v[5:6], v[5:6], off offset:2048
	global_load_b64 v[3:4], v[33:34], off
	global_load_b64 v[1:2], v[33:34], off offset:2048
	s_cmp_eq_u32 s24, 0
	v_or_b32_e32 v37, 0xffffff00, v0
	s_cselect_b32 s0, -1, 0
	s_cmp_eq_u32 s25, 64
	v_lshlrev_b32_e32 v36, 2, v0
	s_cselect_b32 s1, -1, 0
	s_delay_alu instid0(SALU_CYCLE_1)
	s_and_b32 s1, s0, s1
	s_mov_b32 s0, 0
	s_and_b32 vcc_lo, exec_lo, s1
	s_mov_b32 s1, -1
	s_cbranch_vccnz .LBB23_149
; %bb.108:
	v_or_b32_e32 v33, 0xffffff00, v0
	v_lshlrev_b32_e32 v34, 2, v0
	v_mov_b32_e32 v38, 0
.LBB23_109:                             ; =>This Inner Loop Header: Depth=1
	s_delay_alu instid0(VALU_DEP_3) | instskip(SKIP_4) | instid1(SALU_CYCLE_1)
	v_add_nc_u32_e32 v33, 0x100, v33
	ds_store_b32 v34, v38
	v_add_nc_u32_e32 v34, 0x400, v34
	v_cmp_lt_u32_e32 vcc_lo, 0x1eff, v33
	s_or_b32 s0, vcc_lo, s0
	s_and_not1_b32 exec_lo, exec_lo, s0
	s_cbranch_execnz .LBB23_109
; %bb.110:
	s_or_b32 exec_lo, exec_lo, s0
	s_cmp_gt_u32 s25, s24
	s_waitcnt vmcnt(0) lgkmcnt(0)
	s_waitcnt_vscnt null, 0x0
	s_cselect_b32 s0, -1, 0
	s_cmp_le_u32 s25, s24
	s_barrier
	buffer_gl0_inv
	s_cbranch_scc1 .LBB23_143
; %bb.111:
	v_and_b32_e32 v33, 3, v0
	v_xor_b32_e32 v34, 0x80000000, v32
	v_mov_b32_e32 v39, 1
	s_sub_i32 s1, s25, s24
	s_mov_b32 s3, s24
	v_dual_mov_b32 v33, v31 :: v_dual_lshlrev_b32 v38, 2, v33
	s_mov_b32 s2, s1
	s_delay_alu instid0(VALU_DEP_1)
	v_mov_b32_e32 v40, v38
.LBB23_112:                             ; =>This Inner Loop Header: Depth=1
	s_delay_alu instid0(VALU_DEP_2) | instskip(SKIP_4) | instid1(VALU_DEP_1)
	v_lshrrev_b64 v[41:42], s3, v[33:34]
	s_min_u32 s4, s2, 8
	s_add_i32 s3, s3, 8
	s_add_i32 s2, s2, -8
	s_cmp_lt_u32 s3, s25
	v_bfe_u32 v41, v41, 0, s4
	s_delay_alu instid0(VALU_DEP_1)
	v_lshl_add_u32 v41, v41, 4, v40
	v_add_nc_u32_e32 v40, 0x1000, v40
	ds_add_u32 v41, v39
	s_cbranch_scc1 .LBB23_112
; %bb.113:
	v_xor_b32_e32 v34, 0x80000000, v30
	v_dual_mov_b32 v33, v29 :: v_dual_mov_b32 v40, v38
	v_mov_b32_e32 v39, 1
	s_mov_b32 s2, s1
	s_mov_b32 s3, s24
.LBB23_114:                             ; =>This Inner Loop Header: Depth=1
	s_delay_alu instid0(VALU_DEP_2) | instid1(SALU_CYCLE_1)
	v_lshrrev_b64 v[41:42], s3, v[33:34]
	s_min_u32 s4, s2, 8
	s_add_i32 s3, s3, 8
	s_add_i32 s2, s2, -8
	s_cmp_lt_u32 s3, s25
	s_delay_alu instid0(VALU_DEP_1) | instskip(NEXT) | instid1(VALU_DEP_1)
	v_bfe_u32 v41, v41, 0, s4
	v_lshl_add_u32 v41, v41, 4, v40
	v_add_nc_u32_e32 v40, 0x1000, v40
	ds_add_u32 v41, v39
	s_cbranch_scc1 .LBB23_114
; %bb.115:
	v_xor_b32_e32 v34, 0x80000000, v28
	v_dual_mov_b32 v33, v27 :: v_dual_mov_b32 v40, v38
	v_mov_b32_e32 v39, 1
	s_mov_b32 s2, s1
	s_mov_b32 s3, s24
.LBB23_116:                             ; =>This Inner Loop Header: Depth=1
	s_delay_alu instid0(VALU_DEP_2) | instid1(SALU_CYCLE_1)
	v_lshrrev_b64 v[41:42], s3, v[33:34]
	s_min_u32 s4, s2, 8
	s_add_i32 s3, s3, 8
	s_add_i32 s2, s2, -8
	s_cmp_lt_u32 s3, s25
	s_delay_alu instid0(VALU_DEP_1) | instskip(NEXT) | instid1(VALU_DEP_1)
	v_bfe_u32 v41, v41, 0, s4
	v_lshl_add_u32 v41, v41, 4, v40
	v_add_nc_u32_e32 v40, 0x1000, v40
	ds_add_u32 v41, v39
	s_cbranch_scc1 .LBB23_116
	;; [unrolled: 19-line block ×14, first 2 shown]
; %bb.141:
	v_xor_b32_e32 v34, 0x80000000, v2
	v_mov_b32_e32 v33, v1
	v_mov_b32_e32 v39, 1
	s_mov_b32 s2, s24
.LBB23_142:                             ; =>This Inner Loop Header: Depth=1
	s_delay_alu instid0(VALU_DEP_2) | instid1(SALU_CYCLE_1)
	v_lshrrev_b64 v[40:41], s2, v[33:34]
	s_min_u32 s3, s1, 8
	s_add_i32 s2, s2, 8
	s_add_i32 s1, s1, -8
	s_cmp_lt_u32 s2, s25
	s_delay_alu instid0(VALU_DEP_1) | instskip(NEXT) | instid1(VALU_DEP_1)
	v_bfe_u32 v40, v40, 0, s3
	v_lshl_add_u32 v40, v40, 4, v38
	v_add_nc_u32_e32 v38, 0x1000, v38
	ds_add_u32 v40, v39
	s_cbranch_scc1 .LBB23_142
.LBB23_143:
	s_and_b32 vcc_lo, exec_lo, s0
	s_waitcnt lgkmcnt(0)
	s_barrier
	buffer_gl0_inv
	s_cbranch_vccz .LBB23_148
; %bb.144:
	v_cmp_gt_u32_e32 vcc_lo, 0x100, v0
	v_dual_mov_b32 v33, v0 :: v_dual_lshlrev_b32 v38, 4, v0
	v_mov_b32_e32 v34, 0
	s_set_inst_prefetch_distance 0x1
	s_branch .LBB23_146
	.p2align	6
.LBB23_145:                             ;   in Loop: Header=BB23_146 Depth=1
	s_or_b32 exec_lo, exec_lo, s1
	v_add_nc_u32_e32 v33, 0x100, v33
	v_add_nc_u32_e32 v38, 0x1000, v38
	s_add_i32 s24, s24, 8
	s_delay_alu instid0(SALU_CYCLE_1)
	s_cmp_ge_u32 s24, s25
	s_cbranch_scc1 .LBB23_148
.LBB23_146:                             ; =>This Inner Loop Header: Depth=1
	s_and_saveexec_b32 s1, vcc_lo
	s_cbranch_execz .LBB23_145
; %bb.147:                              ;   in Loop: Header=BB23_146 Depth=1
	ds_load_2addr_b32 v[39:40], v38 offset1:1
	ds_load_2addr_b32 v[41:42], v38 offset0:2 offset1:3
	v_lshlrev_b64 v[43:44], 3, v[33:34]
	s_waitcnt lgkmcnt(1)
	v_add_nc_u32_e32 v45, v40, v39
	s_delay_alu instid0(VALU_DEP_2) | instskip(NEXT) | instid1(VALU_DEP_1)
	v_add_co_u32 v39, s0, s18, v43
	v_add_co_ci_u32_e64 v40, s0, s19, v44, s0
	s_waitcnt lgkmcnt(0)
	s_delay_alu instid0(VALU_DEP_3)
	v_add3_u32 v41, v45, v41, v42
	v_mov_b32_e32 v42, v34
	global_atomic_add_u64 v[39:40], v[41:42], off
	s_branch .LBB23_145
.LBB23_148:
	s_set_inst_prefetch_distance 0x2
	s_mov_b32 s1, 0
.LBB23_149:
	s_delay_alu instid0(SALU_CYCLE_1)
	s_and_b32 vcc_lo, exec_lo, s1
	s_cbranch_vccz .LBB23_154
; %bb.150:
	v_dual_mov_b32 v33, 0 :: v_dual_mov_b32 v34, v36
	s_mov_b32 s0, 0
.LBB23_151:                             ; =>This Inner Loop Header: Depth=1
	v_add_nc_u32_e32 v37, 0x100, v37
	ds_store_b32 v34, v33
	v_add_nc_u32_e32 v34, 0x400, v34
	v_cmp_lt_u32_e32 vcc_lo, 0x1eff, v37
	s_or_b32 s0, vcc_lo, s0
	s_delay_alu instid0(SALU_CYCLE_1)
	s_and_not1_b32 exec_lo, exec_lo, s0
	s_cbranch_execnz .LBB23_151
; %bb.152:
	s_or_b32 exec_lo, exec_lo, s0
	v_and_b32_e32 v33, 3, v0
	s_waitcnt vmcnt(5)
	v_lshlrev_b32_e32 v34, 2, v31
	v_lshrrev_b32_e32 v37, 6, v31
	v_lshrrev_b32_e32 v38, 14, v31
	;; [unrolled: 1-line block ×3, first 2 shown]
	s_waitcnt vmcnt(0) lgkmcnt(0)
	s_waitcnt_vscnt null, 0x0
	v_and_or_b32 v39, 0x3fc, v34, v33
	v_mov_b32_e32 v34, 1
	v_and_or_b32 v37, 0x3fc, v37, v33
	v_and_or_b32 v38, 0x3fc, v38, v33
	s_barrier
	v_lshlrev_b32_e32 v39, 2, v39
	buffer_gl0_inv
	v_lshlrev_b32_e32 v37, 2, v37
	v_alignbit_b32 v31, v32, v31, 30
	v_lshlrev_b32_e32 v38, 2, v38
	ds_add_u32 v39, v34
	v_and_or_b32 v39, 0x3fc, v40, v33
	v_lshrrev_b32_e32 v40, 6, v32
	ds_add_u32 v37, v34 offset:4096
	ds_add_u32 v38, v34 offset:8192
	v_and_or_b32 v38, 0x3fc, v31, v33
	v_or_b32_e32 v31, 0x1c00, v33
	v_lshlrev_b32_e32 v37, 2, v39
	v_and_or_b32 v39, 0x3fc, v40, v33
	v_lshrrev_b32_e32 v40, 14, v32
	v_lshrrev_b32_e32 v32, 22, v32
	s_mov_b32 s0, exec_lo
	ds_add_u32 v37, v34 offset:12288
	v_lshlrev_b32_e32 v37, 2, v38
	v_lshlrev_b32_e32 v38, 2, v39
	v_and_or_b32 v39, 0x3fc, v40, v33
	v_and_or_b32 v32, 0x3fc, v32, v31
	v_lshlrev_b32_e32 v40, 2, v29
	ds_add_u32 v37, v34 offset:16384
	ds_add_u32 v38, v34 offset:20480
	v_lshlrev_b32_e32 v37, 2, v39
	v_xor_b32_e32 v32, 0x200, v32
	v_and_or_b32 v38, 0x3fc, v40, v33
	v_lshrrev_b32_e32 v39, 6, v29
	v_lshrrev_b32_e32 v40, 14, v29
	ds_add_u32 v37, v34 offset:24576
	v_lshlrev_b32_e32 v32, 2, v32
	v_lshlrev_b32_e32 v37, 2, v38
	v_and_or_b32 v38, 0x3fc, v39, v33
	v_and_or_b32 v39, 0x3fc, v40, v33
	v_lshrrev_b32_e32 v40, 22, v29
	ds_add_u32 v32, v34
	ds_add_u32 v37, v34
	v_alignbit_b32 v29, v30, v29, 30
	v_lshlrev_b32_e32 v32, 2, v38
	v_lshlrev_b32_e32 v37, 2, v39
	v_and_or_b32 v38, 0x3fc, v40, v33
	v_lshrrev_b32_e32 v39, 6, v30
	ds_add_u32 v32, v34 offset:4096
	ds_add_u32 v37, v34 offset:8192
	v_and_or_b32 v29, 0x3fc, v29, v33
	v_lshlrev_b32_e32 v32, 2, v38
	v_and_or_b32 v37, 0x3fc, v39, v33
	v_lshrrev_b32_e32 v38, 14, v30
	v_lshrrev_b32_e32 v30, 22, v30
	v_lshlrev_b32_e32 v29, 2, v29
	ds_add_u32 v32, v34 offset:12288
	v_lshlrev_b32_e32 v32, 2, v37
	v_and_or_b32 v37, 0x3fc, v38, v33
	v_and_or_b32 v30, 0x3fc, v30, v31
	v_lshlrev_b32_e32 v38, 2, v27
	ds_add_u32 v29, v34 offset:16384
	ds_add_u32 v32, v34 offset:20480
	v_lshlrev_b32_e32 v29, 2, v37
	v_xor_b32_e32 v30, 0x200, v30
	v_and_or_b32 v32, 0x3fc, v38, v33
	v_lshrrev_b32_e32 v37, 6, v27
	v_lshrrev_b32_e32 v38, 14, v27
	ds_add_u32 v29, v34 offset:24576
	v_lshlrev_b32_e32 v29, 2, v30
	v_lshlrev_b32_e32 v30, 2, v32
	v_and_or_b32 v32, 0x3fc, v37, v33
	v_and_or_b32 v37, 0x3fc, v38, v33
	v_lshrrev_b32_e32 v38, 22, v27
	ds_add_u32 v29, v34
	ds_add_u32 v30, v34
	v_alignbit_b32 v27, v28, v27, 30
	v_lshlrev_b32_e32 v29, 2, v32
	v_lshlrev_b32_e32 v30, 2, v37
	v_and_or_b32 v32, 0x3fc, v38, v33
	v_lshrrev_b32_e32 v37, 6, v28
	ds_add_u32 v29, v34 offset:4096
	ds_add_u32 v30, v34 offset:8192
	v_and_or_b32 v27, 0x3fc, v27, v33
	v_lshlrev_b32_e32 v29, 2, v32
	v_and_or_b32 v30, 0x3fc, v37, v33
	v_lshrrev_b32_e32 v32, 14, v28
	v_lshrrev_b32_e32 v28, 22, v28
	v_lshlrev_b32_e32 v27, 2, v27
	ds_add_u32 v29, v34 offset:12288
	;; [unrolled: 33-line block ×4, first 2 shown]
	v_lshlrev_b32_e32 v25, 2, v26
	v_and_or_b32 v26, 0x3fc, v27, v31
	v_and_or_b32 v24, 0x3fc, v24, v33
	v_lshlrev_b32_e32 v27, 2, v21
	ds_add_u32 v23, v34 offset:16384
	ds_add_u32 v25, v34 offset:20480
	v_xor_b32_e32 v23, 0x200, v26
	v_lshlrev_b32_e32 v24, 2, v24
	v_and_or_b32 v25, 0x3fc, v27, v33
	v_lshrrev_b32_e32 v26, 6, v21
	v_lshrrev_b32_e32 v27, 14, v21
	v_lshlrev_b32_e32 v23, 2, v23
	ds_add_u32 v24, v34 offset:24576
	v_lshlrev_b32_e32 v24, 2, v25
	v_and_or_b32 v25, 0x3fc, v26, v33
	v_and_or_b32 v26, 0x3fc, v27, v33
	ds_add_u32 v23, v34
	v_lshrrev_b32_e32 v23, 22, v21
	v_alignbit_b32 v21, v22, v21, 30
	ds_add_u32 v24, v34
	v_lshlrev_b32_e32 v24, 2, v25
	v_lshlrev_b32_e32 v25, 2, v26
	v_and_or_b32 v23, 0x3fc, v23, v33
	v_lshrrev_b32_e32 v26, 6, v22
	v_and_or_b32 v21, 0x3fc, v21, v33
	ds_add_u32 v24, v34 offset:4096
	ds_add_u32 v25, v34 offset:8192
	v_lshrrev_b32_e32 v25, 22, v22
	v_lshlrev_b32_e32 v23, 2, v23
	v_and_or_b32 v24, 0x3fc, v26, v33
	v_lshrrev_b32_e32 v22, 14, v22
	v_lshlrev_b32_e32 v21, 2, v21
	ds_add_u32 v23, v34 offset:12288
	v_lshlrev_b32_e32 v23, 2, v24
	v_and_or_b32 v24, 0x3fc, v25, v31
	v_and_or_b32 v22, 0x3fc, v22, v33
	ds_add_u32 v21, v34 offset:16384
	v_lshlrev_b32_e32 v21, 2, v19
	ds_add_u32 v23, v34 offset:20480
	v_xor_b32_e32 v23, 0x200, v24
	v_lshlrev_b32_e32 v22, 2, v22
	v_lshrrev_b32_e32 v24, 6, v19
	v_and_or_b32 v21, 0x3fc, v21, v33
	v_lshrrev_b32_e32 v25, 14, v19
	v_lshlrev_b32_e32 v23, 2, v23
	ds_add_u32 v22, v34 offset:24576
	v_and_or_b32 v22, 0x3fc, v24, v33
	v_lshlrev_b32_e32 v21, 2, v21
	v_and_or_b32 v24, 0x3fc, v25, v33
	ds_add_u32 v23, v34
	v_lshrrev_b32_e32 v23, 22, v19
	v_lshlrev_b32_e32 v22, 2, v22
	ds_add_u32 v21, v34
	v_lshlrev_b32_e32 v21, 2, v24
	v_alignbit_b32 v19, v20, v19, 30
	v_and_or_b32 v23, 0x3fc, v23, v33
	ds_add_u32 v22, v34 offset:4096
	v_lshrrev_b32_e32 v22, 6, v20
	ds_add_u32 v21, v34 offset:8192
	v_and_or_b32 v19, 0x3fc, v19, v33
	v_lshlrev_b32_e32 v21, 2, v23
	v_lshrrev_b32_e32 v23, 22, v20
	v_and_or_b32 v22, 0x3fc, v22, v33
	v_lshrrev_b32_e32 v20, 14, v20
	v_lshlrev_b32_e32 v19, 2, v19
	ds_add_u32 v21, v34 offset:12288
	v_and_or_b32 v21, 0x3fc, v23, v31
	v_lshlrev_b32_e32 v22, 2, v22
	v_and_or_b32 v20, 0x3fc, v20, v33
	ds_add_u32 v19, v34 offset:16384
	v_lshlrev_b32_e32 v19, 2, v17
	v_xor_b32_e32 v21, 0x200, v21
	ds_add_u32 v22, v34 offset:20480
	v_lshlrev_b32_e32 v20, 2, v20
	v_lshrrev_b32_e32 v22, 6, v17
	v_and_or_b32 v19, 0x3fc, v19, v33
	v_lshlrev_b32_e32 v21, 2, v21
	v_lshrrev_b32_e32 v23, 14, v17
	ds_add_u32 v20, v34 offset:24576
	v_and_or_b32 v20, 0x3fc, v22, v33
	v_lshlrev_b32_e32 v19, 2, v19
	ds_add_u32 v21, v34
	v_and_or_b32 v21, 0x3fc, v23, v33
	v_lshrrev_b32_e32 v22, 22, v17
	v_lshlrev_b32_e32 v20, 2, v20
	ds_add_u32 v19, v34
	v_alignbit_b32 v17, v18, v17, 30
	v_lshlrev_b32_e32 v19, 2, v21
	v_and_or_b32 v21, 0x3fc, v22, v33
	ds_add_u32 v20, v34 offset:4096
	v_lshrrev_b32_e32 v20, 6, v18
	v_and_or_b32 v17, 0x3fc, v17, v33
	ds_add_u32 v19, v34 offset:8192
	v_lshlrev_b32_e32 v19, 2, v21
	v_lshrrev_b32_e32 v21, 14, v18
	v_and_or_b32 v20, 0x3fc, v20, v33
	v_lshlrev_b32_e32 v17, 2, v17
	v_lshrrev_b32_e32 v18, 22, v18
	ds_add_u32 v19, v34 offset:12288
	v_and_or_b32 v19, 0x3fc, v21, v33
	v_lshlrev_b32_e32 v20, 2, v20
	ds_add_u32 v17, v34 offset:16384
	v_and_or_b32 v17, 0x3fc, v18, v31
	v_lshlrev_b32_e32 v18, 2, v15
	v_lshlrev_b32_e32 v19, 2, v19
	ds_add_u32 v20, v34 offset:20480
	v_lshrrev_b32_e32 v20, 6, v15
	v_xor_b32_e32 v17, 0x200, v17
	v_and_or_b32 v18, 0x3fc, v18, v33
	ds_add_u32 v19, v34 offset:24576
	v_lshrrev_b32_e32 v19, 14, v15
	v_and_or_b32 v20, 0x3fc, v20, v33
	v_lshlrev_b32_e32 v17, 2, v17
	v_lshrrev_b32_e32 v21, 22, v15
	v_lshlrev_b32_e32 v18, 2, v18
	v_and_or_b32 v19, 0x3fc, v19, v33
	v_lshlrev_b32_e32 v20, 2, v20
	ds_add_u32 v17, v34
	ds_add_u32 v18, v34
	v_and_or_b32 v17, 0x3fc, v21, v33
	v_lshlrev_b32_e32 v18, 2, v19
	v_alignbit_b32 v15, v16, v15, 30
	v_lshrrev_b32_e32 v19, 6, v16
	ds_add_u32 v20, v34 offset:4096
	v_lshlrev_b32_e32 v17, 2, v17
	ds_add_u32 v18, v34 offset:8192
	v_lshrrev_b32_e32 v18, 22, v16
	v_and_or_b32 v15, 0x3fc, v15, v33
	v_and_or_b32 v19, 0x3fc, v19, v33
	v_lshrrev_b32_e32 v16, 14, v16
	ds_add_u32 v17, v34 offset:12288
	v_and_or_b32 v17, 0x3fc, v18, v31
	v_lshlrev_b32_e32 v15, 2, v15
	v_lshlrev_b32_e32 v18, 2, v19
	;; [unrolled: 1-line block ×3, first 2 shown]
	v_and_or_b32 v16, 0x3fc, v16, v33
	v_xor_b32_e32 v17, 0x200, v17
	ds_add_u32 v15, v34 offset:16384
	ds_add_u32 v18, v34 offset:20480
	v_lshrrev_b32_e32 v18, 6, v13
	v_and_or_b32 v15, 0x3fc, v19, v33
	v_lshlrev_b32_e32 v16, 2, v16
	v_lshlrev_b32_e32 v17, 2, v17
	v_lshrrev_b32_e32 v19, 14, v13
	ds_add_u32 v16, v34 offset:24576
	ds_add_u32 v17, v34
	v_lshlrev_b32_e32 v15, 2, v15
	v_and_or_b32 v16, 0x3fc, v18, v33
	v_and_or_b32 v17, 0x3fc, v19, v33
	v_lshrrev_b32_e32 v18, 6, v14
	ds_add_u32 v15, v34
	v_lshrrev_b32_e32 v15, 22, v13
	v_alignbit_b32 v13, v14, v13, 30
	v_lshlrev_b32_e32 v16, 2, v16
	v_lshlrev_b32_e32 v17, 2, v17
	ds_add_u32 v16, v34 offset:4096
	ds_add_u32 v17, v34 offset:8192
	v_and_or_b32 v15, 0x3fc, v15, v33
	v_and_or_b32 v13, 0x3fc, v13, v33
	;; [unrolled: 1-line block ×3, first 2 shown]
	v_lshrrev_b32_e32 v17, 22, v14
	v_lshrrev_b32_e32 v14, 14, v14
	v_lshlrev_b32_e32 v15, 2, v15
	v_lshlrev_b32_e32 v13, 2, v13
	;; [unrolled: 1-line block ×3, first 2 shown]
	ds_add_u32 v15, v34 offset:12288
	ds_add_u32 v13, v34 offset:16384
	v_and_or_b32 v13, 0x3fc, v17, v31
	v_and_or_b32 v14, 0x3fc, v14, v33
	v_lshlrev_b32_e32 v15, 2, v11
	ds_add_u32 v16, v34 offset:20480
	v_lshrrev_b32_e32 v16, 6, v11
	v_xor_b32_e32 v13, 0x200, v13
	v_lshlrev_b32_e32 v14, 2, v14
	v_lshrrev_b32_e32 v17, 14, v11
	v_and_or_b32 v15, 0x3fc, v15, v33
	v_and_or_b32 v16, 0x3fc, v16, v33
	v_lshlrev_b32_e32 v13, 2, v13
	ds_add_u32 v14, v34 offset:24576
	v_and_or_b32 v14, 0x3fc, v17, v33
	v_lshlrev_b32_e32 v15, 2, v15
	v_lshlrev_b32_e32 v16, 2, v16
	ds_add_u32 v13, v34
	v_lshrrev_b32_e32 v13, 22, v11
	v_lshlrev_b32_e32 v14, 2, v14
	v_alignbit_b32 v11, v12, v11, 30
	ds_add_u32 v15, v34
	ds_add_u32 v16, v34 offset:4096
	v_lshrrev_b32_e32 v15, 22, v12
	v_and_or_b32 v13, 0x3fc, v13, v33
	ds_add_u32 v14, v34 offset:8192
	v_lshrrev_b32_e32 v14, 6, v12
	v_and_or_b32 v11, 0x3fc, v11, v33
	v_lshrrev_b32_e32 v12, 14, v12
	v_lshlrev_b32_e32 v13, 2, v13
	v_and_or_b32 v15, 0x3fc, v15, v31
	v_and_or_b32 v14, 0x3fc, v14, v33
	v_lshlrev_b32_e32 v11, 2, v11
	v_and_or_b32 v12, 0x3fc, v12, v33
	ds_add_u32 v13, v34 offset:12288
	v_lshlrev_b32_e32 v13, 2, v14
	v_xor_b32_e32 v14, 0x200, v15
	ds_add_u32 v11, v34 offset:16384
	v_lshlrev_b32_e32 v11, 2, v9
	v_lshlrev_b32_e32 v12, 2, v12
	ds_add_u32 v13, v34 offset:20480
	v_lshlrev_b32_e32 v13, 2, v14
	v_lshrrev_b32_e32 v14, 6, v9
	v_and_or_b32 v11, 0x3fc, v11, v33
	ds_add_u32 v12, v34 offset:24576
	v_lshrrev_b32_e32 v12, 14, v9
	ds_add_u32 v13, v34
	v_and_or_b32 v13, 0x3fc, v14, v33
	v_lshlrev_b32_e32 v11, 2, v11
	v_lshrrev_b32_e32 v14, 22, v9
	v_and_or_b32 v12, 0x3fc, v12, v33
	v_alignbit_b32 v9, v10, v9, 30
	v_lshlrev_b32_e32 v13, 2, v13
	ds_add_u32 v11, v34
	v_and_or_b32 v11, 0x3fc, v14, v33
	v_lshlrev_b32_e32 v12, 2, v12
	v_and_or_b32 v9, 0x3fc, v9, v33
	ds_add_u32 v13, v34 offset:4096
	v_lshrrev_b32_e32 v13, 6, v10
	v_lshlrev_b32_e32 v11, 2, v11
	ds_add_u32 v12, v34 offset:8192
	v_lshlrev_b32_e32 v9, 2, v9
	v_lshrrev_b32_e32 v12, 22, v10
	v_and_or_b32 v13, 0x3fc, v13, v33
	ds_add_u32 v11, v34 offset:12288
	v_lshrrev_b32_e32 v10, 14, v10
	ds_add_u32 v9, v34 offset:16384
	v_and_or_b32 v9, 0x3fc, v12, v31
	v_lshlrev_b32_e32 v11, 2, v13
	v_lshlrev_b32_e32 v12, 2, v7
	v_and_or_b32 v10, 0x3fc, v10, v33
	v_lshrrev_b32_e32 v13, 6, v7
	v_xor_b32_e32 v9, 0x200, v9
	ds_add_u32 v11, v34 offset:20480
	v_and_or_b32 v11, 0x3fc, v12, v33
	v_lshlrev_b32_e32 v10, 2, v10
	v_and_or_b32 v12, 0x3fc, v13, v33
	v_lshlrev_b32_e32 v9, 2, v9
	v_lshrrev_b32_e32 v13, 14, v7
	v_lshlrev_b32_e32 v11, 2, v11
	ds_add_u32 v10, v34 offset:24576
	v_lshlrev_b32_e32 v10, 2, v12
	ds_add_u32 v9, v34
	v_and_or_b32 v9, 0x3fc, v13, v33
	ds_add_u32 v11, v34
	v_lshrrev_b32_e32 v11, 22, v7
	v_alignbit_b32 v7, v8, v7, 30
	ds_add_u32 v10, v34 offset:4096
	v_lshlrev_b32_e32 v9, 2, v9
	v_lshrrev_b32_e32 v10, 6, v8
	v_and_or_b32 v11, 0x3fc, v11, v33
	v_lshrrev_b32_e32 v12, 14, v8
	v_and_or_b32 v7, 0x3fc, v7, v33
	ds_add_u32 v9, v34 offset:8192
	v_and_or_b32 v9, 0x3fc, v10, v33
	v_lshlrev_b32_e32 v10, 2, v11
	v_and_or_b32 v11, 0x3fc, v12, v33
	v_lshlrev_b32_e32 v7, 2, v7
	v_lshrrev_b32_e32 v8, 22, v8
	v_lshlrev_b32_e32 v9, 2, v9
	ds_add_u32 v10, v34 offset:12288
	v_lshlrev_b32_e32 v10, 2, v11
	ds_add_u32 v7, v34 offset:16384
	v_and_or_b32 v7, 0x3fc, v8, v31
	v_lshlrev_b32_e32 v8, 2, v5
	ds_add_u32 v9, v34 offset:20480
	v_lshrrev_b32_e32 v9, 6, v5
	ds_add_u32 v10, v34 offset:24576
	v_xor_b32_e32 v7, 0x200, v7
	v_lshrrev_b32_e32 v10, 14, v5
	v_and_or_b32 v8, 0x3fc, v8, v33
	v_lshrrev_b32_e32 v11, 22, v5
	v_and_or_b32 v9, 0x3fc, v9, v33
	v_lshlrev_b32_e32 v7, 2, v7
	v_and_or_b32 v10, 0x3fc, v10, v33
	v_lshlrev_b32_e32 v8, 2, v8
	;; [unrolled: 2-line block ×3, first 2 shown]
	ds_add_u32 v7, v34
	v_lshlrev_b32_e32 v7, 2, v10
	ds_add_u32 v8, v34
	v_lshlrev_b32_e32 v8, 2, v11
	ds_add_u32 v9, v34 offset:4096
	v_alignbit_b32 v5, v6, v5, 30
	ds_add_u32 v7, v34 offset:8192
	v_lshrrev_b32_e32 v7, 22, v6
	ds_add_u32 v8, v34 offset:12288
	v_lshrrev_b32_e32 v8, 6, v6
	v_and_or_b32 v5, 0x3fc, v5, v33
	v_lshrrev_b32_e32 v6, 14, v6
	v_and_or_b32 v7, 0x3fc, v7, v31
	v_lshlrev_b32_e32 v9, 2, v3
	v_and_or_b32 v8, 0x3fc, v8, v33
	v_lshlrev_b32_e32 v5, 2, v5
	v_and_or_b32 v6, 0x3fc, v6, v33
	v_xor_b32_e32 v7, 0x200, v7
	v_and_or_b32 v9, 0x3fc, v9, v33
	v_lshlrev_b32_e32 v8, 2, v8
	ds_add_u32 v5, v34 offset:16384
	v_lshlrev_b32_e32 v5, 2, v6
	v_lshlrev_b32_e32 v6, 2, v7
	;; [unrolled: 1-line block ×3, first 2 shown]
	ds_add_u32 v8, v34 offset:20480
	v_lshrrev_b32_e32 v8, 6, v3
	ds_add_u32 v5, v34 offset:24576
	ds_add_u32 v6, v34
	ds_add_u32 v7, v34
	v_lshrrev_b32_e32 v5, 14, v3
	v_lshrrev_b32_e32 v7, 22, v3
	v_alignbit_b32 v3, v4, v3, 30
	v_and_or_b32 v6, 0x3fc, v8, v33
	v_lshrrev_b32_e32 v8, 6, v4
	v_and_or_b32 v5, 0x3fc, v5, v33
	v_and_or_b32 v7, 0x3fc, v7, v33
	;; [unrolled: 1-line block ×3, first 2 shown]
	v_lshlrev_b32_e32 v6, 2, v6
	v_and_or_b32 v8, 0x3fc, v8, v33
	v_lshlrev_b32_e32 v5, 2, v5
	s_delay_alu instid0(VALU_DEP_4)
	v_lshlrev_b32_e32 v3, 2, v3
	ds_add_u32 v6, v34 offset:4096
	v_lshlrev_b32_e32 v6, 2, v7
	ds_add_u32 v5, v34 offset:8192
	v_lshrrev_b32_e32 v5, 22, v4
	v_lshlrev_b32_e32 v7, 2, v8
	ds_add_u32 v6, v34 offset:12288
	ds_add_u32 v3, v34 offset:16384
	;; [unrolled: 1-line block ×3, first 2 shown]
	v_lshrrev_b32_e32 v3, 14, v4
	v_and_or_b32 v4, 0x3fc, v5, v31
	v_lshlrev_b32_e32 v5, 2, v1
	v_lshrrev_b32_e32 v6, 6, v1
	v_lshrrev_b32_e32 v7, 14, v1
	v_and_or_b32 v3, 0x3fc, v3, v33
	v_xor_b32_e32 v4, 0x200, v4
	v_and_or_b32 v5, 0x3fc, v5, v33
	v_and_or_b32 v6, 0x3fc, v6, v33
	v_and_or_b32 v7, 0x3fc, v7, v33
	v_lshlrev_b32_e32 v3, 2, v3
	v_lshlrev_b32_e32 v4, 2, v4
	;; [unrolled: 1-line block ×5, first 2 shown]
	ds_add_u32 v3, v34 offset:24576
	ds_add_u32 v4, v34
	ds_add_u32 v5, v34
	ds_add_u32 v6, v34 offset:4096
	ds_add_u32 v7, v34 offset:8192
	v_lshrrev_b32_e32 v3, 22, v2
	v_lshrrev_b32_e32 v4, 22, v1
	v_alignbit_b32 v1, v2, v1, 30
	v_lshrrev_b32_e32 v5, 6, v2
	v_lshrrev_b32_e32 v2, 14, v2
	v_and_or_b32 v3, 0x3fc, v3, v31
	v_and_or_b32 v4, 0x3fc, v4, v33
	v_and_or_b32 v1, 0x3fc, v1, v33
	v_and_or_b32 v5, 0x3fc, v5, v33
	v_and_or_b32 v2, 0x3fc, v2, v33
	v_xor_b32_e32 v3, 0x200, v3
	v_lshlrev_b32_e32 v4, 2, v4
	v_lshlrev_b32_e32 v1, 2, v1
	;; [unrolled: 1-line block ×5, first 2 shown]
	ds_add_u32 v4, v34 offset:12288
	ds_add_u32 v1, v34 offset:16384
	;; [unrolled: 1-line block ×4, first 2 shown]
	ds_add_u32 v3, v34
	s_waitcnt lgkmcnt(0)
	s_barrier
	buffer_gl0_inv
	v_cmpx_gt_u32_e32 0x100, v0
	s_cbranch_execz .LBB23_154
; %bb.153:
	v_lshlrev_b32_e32 v6, 2, v36
	ds_load_2addr_b32 v[0:1], v6 offset1:1
	ds_load_2addr_b32 v[2:3], v6 offset0:2 offset1:3
	s_waitcnt lgkmcnt(1)
	v_dual_mov_b32 v1, 0 :: v_dual_add_nc_u32 v0, v1, v0
	v_add_nc_u32_e32 v4, 0x1008, v6
	s_waitcnt lgkmcnt(0)
	s_delay_alu instid0(VALU_DEP_2)
	v_add3_u32 v0, v0, v2, v3
	v_or_b32_e32 v2, 0x1000, v6
	global_atomic_add_u64 v35, v[0:1], s[18:19]
	ds_load_2addr_b32 v[2:3], v2 offset1:1
	ds_load_2addr_b32 v[4:5], v4 offset1:1
	s_waitcnt lgkmcnt(1)
	v_add_nc_u32_e32 v0, v3, v2
	v_or_b32_e32 v2, 0x2000, v6
	s_waitcnt lgkmcnt(0)
	s_delay_alu instid0(VALU_DEP_2)
	v_add3_u32 v0, v0, v4, v5
	v_add_nc_u32_e32 v4, 0x2008, v6
	global_atomic_add_u64 v35, v[0:1], s[18:19] offset:2048
	ds_load_2addr_b32 v[2:3], v2 offset1:1
	ds_load_2addr_b32 v[4:5], v4 offset1:1
	s_waitcnt lgkmcnt(1)
	v_add_nc_u32_e32 v0, v3, v2
	v_or_b32_e32 v2, 0x1000, v35
	v_or_b32_e32 v3, 0x3000, v6
	s_waitcnt lgkmcnt(0)
	s_delay_alu instid0(VALU_DEP_3)
	v_add3_u32 v0, v0, v4, v5
	v_add_nc_u32_e32 v4, 0x3008, v6
	global_atomic_add_u64 v2, v[0:1], s[18:19]
	ds_load_2addr_b32 v[2:3], v3 offset1:1
	ds_load_2addr_b32 v[4:5], v4 offset1:1
	s_waitcnt lgkmcnt(1)
	v_add_nc_u32_e32 v0, v3, v2
	v_or_b32_e32 v2, 0x1800, v35
	v_or_b32_e32 v3, 0x4000, v6
	s_waitcnt lgkmcnt(0)
	s_delay_alu instid0(VALU_DEP_3)
	v_add3_u32 v0, v0, v4, v5
	v_add_nc_u32_e32 v4, 0x4008, v6
	global_atomic_add_u64 v2, v[0:1], s[18:19]
	;; [unrolled: 11-line block ×5, first 2 shown]
	ds_load_2addr_b32 v[2:3], v3 offset1:1
	ds_load_2addr_b32 v[4:5], v4 offset1:1
	s_waitcnt lgkmcnt(1)
	v_add_nc_u32_e32 v0, v3, v2
	v_or_b32_e32 v2, 0x3800, v35
	s_waitcnt lgkmcnt(0)
	s_delay_alu instid0(VALU_DEP_2)
	v_add3_u32 v0, v0, v4, v5
	global_atomic_add_u64 v2, v[0:1], s[18:19]
.LBB23_154:
	s_nop 0
	s_sendmsg sendmsg(MSG_DEALLOC_VGPRS)
	s_endpgm
	.section	.rodata,"a",@progbits
	.p2align	6, 0x0
	.amdhsa_kernel _ZN7rocprim17ROCPRIM_304000_NS6detail26onesweep_histograms_kernelINS1_34wrapped_radix_sort_onesweep_configINS0_14default_configElN2at4cuda3cub6detail10OpaqueTypeILi1EEEEELb0EPKlmNS0_19identity_decomposerEEEvT1_PT2_SG_SG_T3_jj
		.amdhsa_group_segment_fixed_size 32768
		.amdhsa_private_segment_fixed_size 0
		.amdhsa_kernarg_size 44
		.amdhsa_user_sgpr_count 15
		.amdhsa_user_sgpr_dispatch_ptr 0
		.amdhsa_user_sgpr_queue_ptr 0
		.amdhsa_user_sgpr_kernarg_segment_ptr 1
		.amdhsa_user_sgpr_dispatch_id 0
		.amdhsa_user_sgpr_private_segment_size 0
		.amdhsa_wavefront_size32 1
		.amdhsa_uses_dynamic_stack 0
		.amdhsa_enable_private_segment 0
		.amdhsa_system_sgpr_workgroup_id_x 1
		.amdhsa_system_sgpr_workgroup_id_y 0
		.amdhsa_system_sgpr_workgroup_id_z 0
		.amdhsa_system_sgpr_workgroup_info 0
		.amdhsa_system_vgpr_workitem_id 0
		.amdhsa_next_free_vgpr 46
		.amdhsa_next_free_sgpr 27
		.amdhsa_reserve_vcc 1
		.amdhsa_float_round_mode_32 0
		.amdhsa_float_round_mode_16_64 0
		.amdhsa_float_denorm_mode_32 3
		.amdhsa_float_denorm_mode_16_64 3
		.amdhsa_dx10_clamp 1
		.amdhsa_ieee_mode 1
		.amdhsa_fp16_overflow 0
		.amdhsa_workgroup_processor_mode 1
		.amdhsa_memory_ordered 1
		.amdhsa_forward_progress 0
		.amdhsa_shared_vgpr_count 0
		.amdhsa_exception_fp_ieee_invalid_op 0
		.amdhsa_exception_fp_denorm_src 0
		.amdhsa_exception_fp_ieee_div_zero 0
		.amdhsa_exception_fp_ieee_overflow 0
		.amdhsa_exception_fp_ieee_underflow 0
		.amdhsa_exception_fp_ieee_inexact 0
		.amdhsa_exception_int_div_zero 0
	.end_amdhsa_kernel
	.section	.text._ZN7rocprim17ROCPRIM_304000_NS6detail26onesweep_histograms_kernelINS1_34wrapped_radix_sort_onesweep_configINS0_14default_configElN2at4cuda3cub6detail10OpaqueTypeILi1EEEEELb0EPKlmNS0_19identity_decomposerEEEvT1_PT2_SG_SG_T3_jj,"axG",@progbits,_ZN7rocprim17ROCPRIM_304000_NS6detail26onesweep_histograms_kernelINS1_34wrapped_radix_sort_onesweep_configINS0_14default_configElN2at4cuda3cub6detail10OpaqueTypeILi1EEEEELb0EPKlmNS0_19identity_decomposerEEEvT1_PT2_SG_SG_T3_jj,comdat
.Lfunc_end23:
	.size	_ZN7rocprim17ROCPRIM_304000_NS6detail26onesweep_histograms_kernelINS1_34wrapped_radix_sort_onesweep_configINS0_14default_configElN2at4cuda3cub6detail10OpaqueTypeILi1EEEEELb0EPKlmNS0_19identity_decomposerEEEvT1_PT2_SG_SG_T3_jj, .Lfunc_end23-_ZN7rocprim17ROCPRIM_304000_NS6detail26onesweep_histograms_kernelINS1_34wrapped_radix_sort_onesweep_configINS0_14default_configElN2at4cuda3cub6detail10OpaqueTypeILi1EEEEELb0EPKlmNS0_19identity_decomposerEEEvT1_PT2_SG_SG_T3_jj
                                        ; -- End function
	.section	.AMDGPU.csdata,"",@progbits
; Kernel info:
; codeLenInByte = 9792
; NumSgprs: 29
; NumVgprs: 46
; ScratchSize: 0
; MemoryBound: 0
; FloatMode: 240
; IeeeMode: 1
; LDSByteSize: 32768 bytes/workgroup (compile time only)
; SGPRBlocks: 3
; VGPRBlocks: 5
; NumSGPRsForWavesPerEU: 29
; NumVGPRsForWavesPerEU: 46
; Occupancy: 8
; WaveLimiterHint : 1
; COMPUTE_PGM_RSRC2:SCRATCH_EN: 0
; COMPUTE_PGM_RSRC2:USER_SGPR: 15
; COMPUTE_PGM_RSRC2:TRAP_HANDLER: 0
; COMPUTE_PGM_RSRC2:TGID_X_EN: 1
; COMPUTE_PGM_RSRC2:TGID_Y_EN: 0
; COMPUTE_PGM_RSRC2:TGID_Z_EN: 0
; COMPUTE_PGM_RSRC2:TIDIG_COMP_CNT: 0
	.section	.text._ZN7rocprim17ROCPRIM_304000_NS6detail25onesweep_iteration_kernelINS1_34wrapped_radix_sort_onesweep_configINS0_14default_configElN2at4cuda3cub6detail10OpaqueTypeILi1EEEEELb0EPKlPlPKSA_PSA_mNS0_19identity_decomposerEEEvT1_T2_T3_T4_jPT5_SO_PNS1_23onesweep_lookback_stateET6_jjj,"axG",@progbits,_ZN7rocprim17ROCPRIM_304000_NS6detail25onesweep_iteration_kernelINS1_34wrapped_radix_sort_onesweep_configINS0_14default_configElN2at4cuda3cub6detail10OpaqueTypeILi1EEEEELb0EPKlPlPKSA_PSA_mNS0_19identity_decomposerEEEvT1_T2_T3_T4_jPT5_SO_PNS1_23onesweep_lookback_stateET6_jjj,comdat
	.protected	_ZN7rocprim17ROCPRIM_304000_NS6detail25onesweep_iteration_kernelINS1_34wrapped_radix_sort_onesweep_configINS0_14default_configElN2at4cuda3cub6detail10OpaqueTypeILi1EEEEELb0EPKlPlPKSA_PSA_mNS0_19identity_decomposerEEEvT1_T2_T3_T4_jPT5_SO_PNS1_23onesweep_lookback_stateET6_jjj ; -- Begin function _ZN7rocprim17ROCPRIM_304000_NS6detail25onesweep_iteration_kernelINS1_34wrapped_radix_sort_onesweep_configINS0_14default_configElN2at4cuda3cub6detail10OpaqueTypeILi1EEEEELb0EPKlPlPKSA_PSA_mNS0_19identity_decomposerEEEvT1_T2_T3_T4_jPT5_SO_PNS1_23onesweep_lookback_stateET6_jjj
	.globl	_ZN7rocprim17ROCPRIM_304000_NS6detail25onesweep_iteration_kernelINS1_34wrapped_radix_sort_onesweep_configINS0_14default_configElN2at4cuda3cub6detail10OpaqueTypeILi1EEEEELb0EPKlPlPKSA_PSA_mNS0_19identity_decomposerEEEvT1_T2_T3_T4_jPT5_SO_PNS1_23onesweep_lookback_stateET6_jjj
	.p2align	8
	.type	_ZN7rocprim17ROCPRIM_304000_NS6detail25onesweep_iteration_kernelINS1_34wrapped_radix_sort_onesweep_configINS0_14default_configElN2at4cuda3cub6detail10OpaqueTypeILi1EEEEELb0EPKlPlPKSA_PSA_mNS0_19identity_decomposerEEEvT1_T2_T3_T4_jPT5_SO_PNS1_23onesweep_lookback_stateET6_jjj,@function
_ZN7rocprim17ROCPRIM_304000_NS6detail25onesweep_iteration_kernelINS1_34wrapped_radix_sort_onesweep_configINS0_14default_configElN2at4cuda3cub6detail10OpaqueTypeILi1EEEEELb0EPKlPlPKSA_PSA_mNS0_19identity_decomposerEEEvT1_T2_T3_T4_jPT5_SO_PNS1_23onesweep_lookback_stateET6_jjj: ; @_ZN7rocprim17ROCPRIM_304000_NS6detail25onesweep_iteration_kernelINS1_34wrapped_radix_sort_onesweep_configINS0_14default_configElN2at4cuda3cub6detail10OpaqueTypeILi1EEEEELb0EPKlPlPKSA_PSA_mNS0_19identity_decomposerEEEvT1_T2_T3_T4_jPT5_SO_PNS1_23onesweep_lookback_stateET6_jjj
; %bb.0:
	s_clause 0x3
	s_load_b128 s[48:51], s[0:1], 0x44
	s_load_b256 s[36:43], s[0:1], 0x0
	s_load_b128 s[44:47], s[0:1], 0x28
	s_load_b64 s[52:53], s[0:1], 0x38
	v_and_b32_e32 v1, 0x3ff, v0
	v_mbcnt_lo_u32_b32 v42, -1, 0
	s_mov_b32 s54, s15
	s_waitcnt lgkmcnt(0)
	s_cmp_ge_u32 s15, s50
	s_cbranch_scc0 .LBB24_164
; %bb.1:
	s_load_b32 s6, s[0:1], 0x20
	s_mov_b32 s4, -1
	s_brev_b32 s5, -2
	v_lshlrev_b32_e32 v2, 4, v1
	s_lshl_b32 s7, s50, 12
	s_lshl_b32 s50, s15, 12
	s_mov_b32 s51, 0
	s_delay_alu instid0(VALU_DEP_1) | instskip(SKIP_2) | instid1(VALU_DEP_2)
	v_and_b32_e32 v43, 0xe00, v2
	v_lshlrev_b32_e32 v2, 3, v42
	s_lshl_b64 s[2:3], s[50:51], 3
	v_lshlrev_b32_e32 v3, 3, v43
	s_waitcnt lgkmcnt(0)
	s_sub_i32 s35, s6, s7
	s_add_u32 s2, s36, s2
	s_addc_u32 s3, s37, s3
	v_add_co_u32 v2, s2, s2, v2
	s_delay_alu instid0(VALU_DEP_1) | instskip(NEXT) | instid1(VALU_DEP_2)
	v_add_co_ci_u32_e64 v4, null, s3, 0, s2
	v_add_co_u32 v2, s2, v2, v3
	s_delay_alu instid0(VALU_DEP_1) | instskip(SKIP_3) | instid1(VALU_DEP_2)
	v_add_co_ci_u32_e64 v3, s2, 0, v4, s2
	v_mov_b32_e32 v4, s4
	v_or_b32_e32 v34, v42, v43
	v_mov_b32_e32 v5, s5
	v_cmp_gt_u32_e32 vcc_lo, s35, v34
	s_and_saveexec_b32 s2, vcc_lo
	s_cbranch_execz .LBB24_3
; %bb.2:
	global_load_b64 v[4:5], v[2:3], off
.LBB24_3:
	s_or_b32 exec_lo, exec_lo, s2
	v_add_nc_u32_e32 v6, 32, v34
	s_delay_alu instid0(VALU_DEP_1) | instskip(SKIP_1) | instid1(VALU_DEP_2)
	v_cmp_gt_u32_e64 s2, s35, v6
	v_dual_mov_b32 v7, s5 :: v_dual_mov_b32 v6, s4
	s_and_saveexec_b32 s3, s2
	s_cbranch_execz .LBB24_5
; %bb.4:
	global_load_b64 v[6:7], v[2:3], off offset:256
.LBB24_5:
	s_or_b32 exec_lo, exec_lo, s3
	v_add_nc_u32_e32 v8, 64, v34
	s_mov_b32 s6, -1
	s_brev_b32 s7, -2
	s_delay_alu instid0(VALU_DEP_1) | instskip(SKIP_1) | instid1(VALU_DEP_2)
	v_cmp_gt_u32_e64 s3, s35, v8
	v_dual_mov_b32 v9, s7 :: v_dual_mov_b32 v8, s6
	s_and_saveexec_b32 s4, s3
	s_cbranch_execz .LBB24_7
; %bb.6:
	global_load_b64 v[8:9], v[2:3], off offset:512
.LBB24_7:
	s_or_b32 exec_lo, exec_lo, s4
	v_add_nc_u32_e32 v10, 0x60, v34
	s_delay_alu instid0(VALU_DEP_1) | instskip(SKIP_1) | instid1(VALU_DEP_2)
	v_cmp_gt_u32_e64 s4, s35, v10
	v_dual_mov_b32 v11, s7 :: v_dual_mov_b32 v10, s6
	s_and_saveexec_b32 s5, s4
	s_cbranch_execz .LBB24_9
; %bb.8:
	global_load_b64 v[10:11], v[2:3], off offset:768
.LBB24_9:
	s_or_b32 exec_lo, exec_lo, s5
	v_add_nc_u32_e32 v12, 0x80, v34
	s_mov_b32 s8, -1
	s_brev_b32 s9, -2
	s_delay_alu instid0(VALU_DEP_1) | instskip(SKIP_1) | instid1(VALU_DEP_2)
	v_cmp_gt_u32_e64 s5, s35, v12
	v_dual_mov_b32 v13, s9 :: v_dual_mov_b32 v12, s8
	s_and_saveexec_b32 s6, s5
	s_cbranch_execz .LBB24_11
; %bb.10:
	global_load_b64 v[12:13], v[2:3], off offset:1024
.LBB24_11:
	;; [unrolled: 22-line block ×5, first 2 shown]
	s_or_b32 exec_lo, exec_lo, s12
	v_add_nc_u32_e32 v26, 0x160, v34
	s_delay_alu instid0(VALU_DEP_1) | instskip(SKIP_1) | instid1(VALU_DEP_2)
	v_cmp_gt_u32_e64 s12, s35, v26
	v_dual_mov_b32 v27, s17 :: v_dual_mov_b32 v26, s16
	s_and_saveexec_b32 s13, s12
	s_cbranch_execz .LBB24_25
; %bb.24:
	global_load_b64 v[26:27], v[2:3], off offset:2816
.LBB24_25:
	s_or_b32 exec_lo, exec_lo, s13
	v_add_nc_u32_e32 v28, 0x180, v34
	s_delay_alu instid0(VALU_DEP_1) | instskip(SKIP_1) | instid1(VALU_DEP_2)
	v_cmp_gt_u32_e64 s13, s35, v28
	v_dual_mov_b32 v29, s17 :: v_dual_mov_b32 v28, s16
	s_and_saveexec_b32 s14, s13
	s_cbranch_execz .LBB24_27
; %bb.26:
	global_load_b64 v[28:29], v[2:3], off offset:3072
.LBB24_27:
	;; [unrolled: 10-line block ×3, first 2 shown]
	s_or_b32 exec_lo, exec_lo, s16
	v_add_nc_u32_e32 v32, 0x1c0, v34
	s_mov_b32 s18, -1
	s_brev_b32 s19, -2
	s_delay_alu instid0(VALU_DEP_1) | instskip(SKIP_1) | instid1(VALU_DEP_2)
	v_cmp_gt_u32_e64 s16, s35, v32
	v_dual_mov_b32 v33, s19 :: v_dual_mov_b32 v32, s18
	s_and_saveexec_b32 s17, s16
	s_cbranch_execz .LBB24_31
; %bb.30:
	global_load_b64 v[32:33], v[2:3], off offset:3584
.LBB24_31:
	s_or_b32 exec_lo, exec_lo, s17
	v_add_nc_u32_e32 v34, 0x1e0, v34
	s_delay_alu instid0(VALU_DEP_1) | instskip(SKIP_1) | instid1(VALU_DEP_2)
	v_cmp_gt_u32_e64 s17, s35, v34
	v_dual_mov_b32 v35, s19 :: v_dual_mov_b32 v34, s18
	s_and_saveexec_b32 s18, s17
	s_cbranch_execz .LBB24_33
; %bb.32:
	global_load_b64 v[34:35], v[2:3], off offset:3840
.LBB24_33:
	s_or_b32 exec_lo, exec_lo, s18
	s_clause 0x1
	s_load_b32 s18, s[0:1], 0x5c
	s_load_b32 s51, s[0:1], 0x50
	s_add_u32 s19, s0, 0x50
	s_addc_u32 s20, s1, 0
	v_mov_b32_e32 v36, 0
	s_waitcnt vmcnt(0)
	v_xor_b32_e32 v5, 0x80000000, v5
	s_delay_alu instid0(VALU_DEP_1) | instskip(SKIP_4) | instid1(SALU_CYCLE_1)
	v_lshrrev_b64 v[2:3], s48, v[4:5]
	s_waitcnt lgkmcnt(0)
	s_lshr_b32 s21, s18, 16
	s_cmp_lt_u32 s15, s51
	s_cselect_b32 s18, 12, 18
	s_add_u32 s18, s19, s18
	s_addc_u32 s19, s20, 0
	global_load_u16 v37, v36, s[18:19]
	s_lshl_b32 s18, -1, s49
	s_delay_alu instid0(SALU_CYCLE_1) | instskip(NEXT) | instid1(SALU_CYCLE_1)
	s_not_b32 s55, s18
	v_and_b32_e32 v38, s55, v2
	v_bfe_u32 v2, v0, 10, 10
	s_delay_alu instid0(VALU_DEP_2)
	v_and_b32_e32 v3, 1, v38
	v_lshlrev_b32_e32 v39, 30, v38
	v_lshlrev_b32_e32 v40, 29, v38
	;; [unrolled: 1-line block ×4, first 2 shown]
	v_add_co_u32 v3, s18, v3, -1
	s_delay_alu instid0(VALU_DEP_1)
	v_cndmask_b32_e64 v44, 0, 1, s18
	v_not_b32_e32 v48, v39
	v_cmp_gt_i32_e64 s19, 0, v39
	v_not_b32_e32 v39, v40
	v_lshlrev_b32_e32 v46, 26, v38
	v_cmp_ne_u32_e64 s18, 0, v44
	v_ashrrev_i32_e32 v48, 31, v48
	v_lshlrev_b32_e32 v47, 25, v38
	v_ashrrev_i32_e32 v39, 31, v39
	v_lshlrev_b32_e32 v44, 24, v38
	v_xor_b32_e32 v3, s18, v3
	v_cmp_gt_i32_e64 s18, 0, v40
	v_not_b32_e32 v40, v41
	v_xor_b32_e32 v48, s19, v48
	v_cmp_gt_i32_e64 s19, 0, v41
	v_and_b32_e32 v3, exec_lo, v3
	v_not_b32_e32 v41, v45
	v_ashrrev_i32_e32 v40, 31, v40
	v_xor_b32_e32 v39, s18, v39
	v_cmp_gt_i32_e64 s18, 0, v45
	v_and_b32_e32 v3, v3, v48
	v_not_b32_e32 v45, v46
	v_ashrrev_i32_e32 v41, 31, v41
	v_xor_b32_e32 v40, s19, v40
	v_cmp_gt_i32_e64 s19, 0, v46
	v_and_b32_e32 v3, v3, v39
	;; [unrolled: 5-line block ×4, first 2 shown]
	v_bfe_u32 v41, v0, 20, 10
	v_ashrrev_i32_e32 v40, 31, v40
	v_xor_b32_e32 v39, s18, v39
	v_mul_u32_u24_e32 v44, 9, v1
	v_and_b32_e32 v3, v3, v45
	v_mad_u32_u24 v41, v41, s21, v2
	v_xor_b32_e32 v40, s19, v40
	s_delay_alu instid0(VALU_DEP_4) | instskip(NEXT) | instid1(VALU_DEP_4)
	v_lshlrev_b32_e32 v45, 2, v44
	v_and_b32_e32 v39, v3, v39
	ds_store_2addr_b32 v45, v36, v36 offset0:8 offset1:9
	ds_store_2addr_b32 v45, v36, v36 offset0:10 offset1:11
	;; [unrolled: 1-line block ×4, first 2 shown]
	ds_store_b32 v45, v36 offset:64
	v_lshl_add_u32 v36, v38, 3, v38
	s_waitcnt vmcnt(0) lgkmcnt(0)
	s_barrier
	buffer_gl0_inv
	; wave barrier
	v_mad_u64_u32 v[2:3], null, v41, v37, v[1:2]
	v_and_b32_e32 v3, v39, v40
	s_delay_alu instid0(VALU_DEP_1) | instskip(NEXT) | instid1(VALU_DEP_3)
	v_mbcnt_lo_u32_b32 v44, v3, 0
	v_lshrrev_b32_e32 v2, 5, v2
	v_cmp_ne_u32_e64 s19, 0, v3
	s_delay_alu instid0(VALU_DEP_3) | instskip(NEXT) | instid1(VALU_DEP_3)
	v_cmp_eq_u32_e64 s18, 0, v44
	v_add_lshl_u32 v46, v2, v36, 2
	s_delay_alu instid0(VALU_DEP_2) | instskip(NEXT) | instid1(SALU_CYCLE_1)
	s_and_b32 s19, s19, s18
	s_and_saveexec_b32 s18, s19
	s_cbranch_execz .LBB24_35
; %bb.34:
	v_bcnt_u32_b32 v3, v3, 0
	ds_store_b32 v46, v3 offset:32
.LBB24_35:
	s_or_b32 exec_lo, exec_lo, s18
	v_xor_b32_e32 v7, 0x80000000, v7
	; wave barrier
	s_delay_alu instid0(VALU_DEP_1) | instskip(NEXT) | instid1(VALU_DEP_1)
	v_lshrrev_b64 v[36:37], s48, v[6:7]
	v_and_b32_e32 v3, s55, v36
	s_delay_alu instid0(VALU_DEP_1)
	v_and_b32_e32 v36, 1, v3
	v_lshlrev_b32_e32 v37, 30, v3
	v_lshlrev_b32_e32 v38, 29, v3
	;; [unrolled: 1-line block ×4, first 2 shown]
	v_add_co_u32 v36, s18, v36, -1
	s_delay_alu instid0(VALU_DEP_1)
	v_cndmask_b32_e64 v40, 0, 1, s18
	v_not_b32_e32 v49, v37
	v_cmp_gt_i32_e64 s19, 0, v37
	v_not_b32_e32 v37, v38
	v_lshlrev_b32_e32 v47, 26, v3
	v_cmp_ne_u32_e64 s18, 0, v40
	v_ashrrev_i32_e32 v49, 31, v49
	v_lshlrev_b32_e32 v48, 25, v3
	v_ashrrev_i32_e32 v37, 31, v37
	v_lshlrev_b32_e32 v40, 24, v3
	v_xor_b32_e32 v36, s18, v36
	v_cmp_gt_i32_e64 s18, 0, v38
	v_not_b32_e32 v38, v39
	v_xor_b32_e32 v49, s19, v49
	v_cmp_gt_i32_e64 s19, 0, v39
	v_and_b32_e32 v36, exec_lo, v36
	v_not_b32_e32 v39, v41
	v_ashrrev_i32_e32 v38, 31, v38
	v_xor_b32_e32 v37, s18, v37
	v_cmp_gt_i32_e64 s18, 0, v41
	v_and_b32_e32 v36, v36, v49
	v_not_b32_e32 v41, v47
	v_ashrrev_i32_e32 v39, 31, v39
	v_xor_b32_e32 v38, s19, v38
	v_cmp_gt_i32_e64 s19, 0, v47
	v_and_b32_e32 v36, v36, v37
	v_not_b32_e32 v37, v48
	v_ashrrev_i32_e32 v41, 31, v41
	v_xor_b32_e32 v39, s18, v39
	v_cmp_gt_i32_e64 s18, 0, v48
	v_and_b32_e32 v36, v36, v38
	v_not_b32_e32 v38, v40
	v_ashrrev_i32_e32 v37, 31, v37
	v_xor_b32_e32 v41, s19, v41
	v_lshl_add_u32 v3, v3, 3, v3
	v_and_b32_e32 v36, v36, v39
	v_cmp_gt_i32_e64 s19, 0, v40
	v_ashrrev_i32_e32 v38, 31, v38
	v_xor_b32_e32 v37, s18, v37
	v_add_lshl_u32 v49, v2, v3, 2
	v_and_b32_e32 v36, v36, v41
	s_delay_alu instid0(VALU_DEP_4) | instskip(SKIP_2) | instid1(VALU_DEP_1)
	v_xor_b32_e32 v3, s19, v38
	ds_load_b32 v47, v49 offset:32
	v_and_b32_e32 v36, v36, v37
	; wave barrier
	v_and_b32_e32 v3, v36, v3
	s_delay_alu instid0(VALU_DEP_1) | instskip(SKIP_1) | instid1(VALU_DEP_2)
	v_mbcnt_lo_u32_b32 v48, v3, 0
	v_cmp_ne_u32_e64 s19, 0, v3
	v_cmp_eq_u32_e64 s18, 0, v48
	s_delay_alu instid0(VALU_DEP_1) | instskip(NEXT) | instid1(SALU_CYCLE_1)
	s_and_b32 s19, s19, s18
	s_and_saveexec_b32 s18, s19
	s_cbranch_execz .LBB24_37
; %bb.36:
	s_waitcnt lgkmcnt(0)
	v_bcnt_u32_b32 v3, v3, v47
	ds_store_b32 v49, v3 offset:32
.LBB24_37:
	s_or_b32 exec_lo, exec_lo, s18
	v_xor_b32_e32 v9, 0x80000000, v9
	; wave barrier
	s_delay_alu instid0(VALU_DEP_1) | instskip(NEXT) | instid1(VALU_DEP_1)
	v_lshrrev_b64 v[36:37], s48, v[8:9]
	v_and_b32_e32 v3, s55, v36
	s_delay_alu instid0(VALU_DEP_1)
	v_and_b32_e32 v36, 1, v3
	v_lshlrev_b32_e32 v37, 30, v3
	v_lshlrev_b32_e32 v38, 29, v3
	;; [unrolled: 1-line block ×4, first 2 shown]
	v_add_co_u32 v36, s18, v36, -1
	s_delay_alu instid0(VALU_DEP_1)
	v_cndmask_b32_e64 v40, 0, 1, s18
	v_not_b32_e32 v52, v37
	v_cmp_gt_i32_e64 s19, 0, v37
	v_not_b32_e32 v37, v38
	v_lshlrev_b32_e32 v50, 26, v3
	v_cmp_ne_u32_e64 s18, 0, v40
	v_ashrrev_i32_e32 v52, 31, v52
	v_lshlrev_b32_e32 v51, 25, v3
	v_ashrrev_i32_e32 v37, 31, v37
	v_lshlrev_b32_e32 v40, 24, v3
	v_xor_b32_e32 v36, s18, v36
	v_cmp_gt_i32_e64 s18, 0, v38
	v_not_b32_e32 v38, v39
	v_xor_b32_e32 v52, s19, v52
	v_cmp_gt_i32_e64 s19, 0, v39
	v_and_b32_e32 v36, exec_lo, v36
	v_not_b32_e32 v39, v41
	v_ashrrev_i32_e32 v38, 31, v38
	v_xor_b32_e32 v37, s18, v37
	v_cmp_gt_i32_e64 s18, 0, v41
	v_and_b32_e32 v36, v36, v52
	v_not_b32_e32 v41, v50
	v_ashrrev_i32_e32 v39, 31, v39
	v_xor_b32_e32 v38, s19, v38
	v_cmp_gt_i32_e64 s19, 0, v50
	v_and_b32_e32 v36, v36, v37
	v_not_b32_e32 v37, v51
	v_ashrrev_i32_e32 v41, 31, v41
	v_xor_b32_e32 v39, s18, v39
	v_cmp_gt_i32_e64 s18, 0, v51
	v_and_b32_e32 v36, v36, v38
	v_not_b32_e32 v38, v40
	v_ashrrev_i32_e32 v37, 31, v37
	v_xor_b32_e32 v41, s19, v41
	v_lshl_add_u32 v3, v3, 3, v3
	v_and_b32_e32 v36, v36, v39
	v_cmp_gt_i32_e64 s19, 0, v40
	v_ashrrev_i32_e32 v38, 31, v38
	v_xor_b32_e32 v37, s18, v37
	v_add_lshl_u32 v52, v2, v3, 2
	v_and_b32_e32 v36, v36, v41
	s_delay_alu instid0(VALU_DEP_4) | instskip(SKIP_2) | instid1(VALU_DEP_1)
	v_xor_b32_e32 v3, s19, v38
	ds_load_b32 v50, v52 offset:32
	v_and_b32_e32 v36, v36, v37
	; wave barrier
	v_and_b32_e32 v3, v36, v3
	s_delay_alu instid0(VALU_DEP_1) | instskip(SKIP_1) | instid1(VALU_DEP_2)
	v_mbcnt_lo_u32_b32 v51, v3, 0
	v_cmp_ne_u32_e64 s19, 0, v3
	v_cmp_eq_u32_e64 s18, 0, v51
	s_delay_alu instid0(VALU_DEP_1) | instskip(NEXT) | instid1(SALU_CYCLE_1)
	s_and_b32 s19, s19, s18
	s_and_saveexec_b32 s18, s19
	s_cbranch_execz .LBB24_39
; %bb.38:
	s_waitcnt lgkmcnt(0)
	v_bcnt_u32_b32 v3, v3, v50
	ds_store_b32 v52, v3 offset:32
.LBB24_39:
	s_or_b32 exec_lo, exec_lo, s18
	v_xor_b32_e32 v11, 0x80000000, v11
	; wave barrier
	s_delay_alu instid0(VALU_DEP_1) | instskip(NEXT) | instid1(VALU_DEP_1)
	v_lshrrev_b64 v[36:37], s48, v[10:11]
	v_and_b32_e32 v3, s55, v36
	s_delay_alu instid0(VALU_DEP_1)
	v_and_b32_e32 v36, 1, v3
	v_lshlrev_b32_e32 v37, 30, v3
	v_lshlrev_b32_e32 v38, 29, v3
	;; [unrolled: 1-line block ×4, first 2 shown]
	v_add_co_u32 v36, s18, v36, -1
	s_delay_alu instid0(VALU_DEP_1)
	v_cndmask_b32_e64 v40, 0, 1, s18
	v_not_b32_e32 v55, v37
	v_cmp_gt_i32_e64 s19, 0, v37
	v_not_b32_e32 v37, v38
	v_lshlrev_b32_e32 v53, 26, v3
	v_cmp_ne_u32_e64 s18, 0, v40
	v_ashrrev_i32_e32 v55, 31, v55
	v_lshlrev_b32_e32 v54, 25, v3
	v_ashrrev_i32_e32 v37, 31, v37
	v_lshlrev_b32_e32 v40, 24, v3
	v_xor_b32_e32 v36, s18, v36
	v_cmp_gt_i32_e64 s18, 0, v38
	v_not_b32_e32 v38, v39
	v_xor_b32_e32 v55, s19, v55
	v_cmp_gt_i32_e64 s19, 0, v39
	v_and_b32_e32 v36, exec_lo, v36
	v_not_b32_e32 v39, v41
	v_ashrrev_i32_e32 v38, 31, v38
	v_xor_b32_e32 v37, s18, v37
	v_cmp_gt_i32_e64 s18, 0, v41
	v_and_b32_e32 v36, v36, v55
	v_not_b32_e32 v41, v53
	v_ashrrev_i32_e32 v39, 31, v39
	v_xor_b32_e32 v38, s19, v38
	v_cmp_gt_i32_e64 s19, 0, v53
	v_and_b32_e32 v36, v36, v37
	;; [unrolled: 5-line block ×3, first 2 shown]
	v_not_b32_e32 v38, v40
	v_ashrrev_i32_e32 v37, 31, v37
	v_xor_b32_e32 v41, s19, v41
	v_lshl_add_u32 v3, v3, 3, v3
	v_and_b32_e32 v36, v36, v39
	v_cmp_gt_i32_e64 s19, 0, v40
	v_ashrrev_i32_e32 v38, 31, v38
	v_xor_b32_e32 v37, s18, v37
	v_add_lshl_u32 v55, v2, v3, 2
	v_and_b32_e32 v36, v36, v41
	s_delay_alu instid0(VALU_DEP_4) | instskip(SKIP_2) | instid1(VALU_DEP_1)
	v_xor_b32_e32 v3, s19, v38
	ds_load_b32 v53, v55 offset:32
	v_and_b32_e32 v36, v36, v37
	; wave barrier
	v_and_b32_e32 v3, v36, v3
	s_delay_alu instid0(VALU_DEP_1) | instskip(SKIP_1) | instid1(VALU_DEP_2)
	v_mbcnt_lo_u32_b32 v54, v3, 0
	v_cmp_ne_u32_e64 s19, 0, v3
	v_cmp_eq_u32_e64 s18, 0, v54
	s_delay_alu instid0(VALU_DEP_1) | instskip(NEXT) | instid1(SALU_CYCLE_1)
	s_and_b32 s19, s19, s18
	s_and_saveexec_b32 s18, s19
	s_cbranch_execz .LBB24_41
; %bb.40:
	s_waitcnt lgkmcnt(0)
	v_bcnt_u32_b32 v3, v3, v53
	ds_store_b32 v55, v3 offset:32
.LBB24_41:
	s_or_b32 exec_lo, exec_lo, s18
	v_xor_b32_e32 v13, 0x80000000, v13
	; wave barrier
	s_delay_alu instid0(VALU_DEP_1) | instskip(NEXT) | instid1(VALU_DEP_1)
	v_lshrrev_b64 v[36:37], s48, v[12:13]
	v_and_b32_e32 v3, s55, v36
	s_delay_alu instid0(VALU_DEP_1)
	v_and_b32_e32 v36, 1, v3
	v_lshlrev_b32_e32 v37, 30, v3
	v_lshlrev_b32_e32 v38, 29, v3
	;; [unrolled: 1-line block ×4, first 2 shown]
	v_add_co_u32 v36, s18, v36, -1
	s_delay_alu instid0(VALU_DEP_1)
	v_cndmask_b32_e64 v40, 0, 1, s18
	v_not_b32_e32 v58, v37
	v_cmp_gt_i32_e64 s19, 0, v37
	v_not_b32_e32 v37, v38
	v_lshlrev_b32_e32 v56, 26, v3
	v_cmp_ne_u32_e64 s18, 0, v40
	v_ashrrev_i32_e32 v58, 31, v58
	v_lshlrev_b32_e32 v57, 25, v3
	v_ashrrev_i32_e32 v37, 31, v37
	v_lshlrev_b32_e32 v40, 24, v3
	v_xor_b32_e32 v36, s18, v36
	v_cmp_gt_i32_e64 s18, 0, v38
	v_not_b32_e32 v38, v39
	v_xor_b32_e32 v58, s19, v58
	v_cmp_gt_i32_e64 s19, 0, v39
	v_and_b32_e32 v36, exec_lo, v36
	v_not_b32_e32 v39, v41
	v_ashrrev_i32_e32 v38, 31, v38
	v_xor_b32_e32 v37, s18, v37
	v_cmp_gt_i32_e64 s18, 0, v41
	v_and_b32_e32 v36, v36, v58
	v_not_b32_e32 v41, v56
	v_ashrrev_i32_e32 v39, 31, v39
	v_xor_b32_e32 v38, s19, v38
	v_cmp_gt_i32_e64 s19, 0, v56
	v_and_b32_e32 v36, v36, v37
	;; [unrolled: 5-line block ×3, first 2 shown]
	v_not_b32_e32 v38, v40
	v_ashrrev_i32_e32 v37, 31, v37
	v_xor_b32_e32 v41, s19, v41
	v_lshl_add_u32 v3, v3, 3, v3
	v_and_b32_e32 v36, v36, v39
	v_cmp_gt_i32_e64 s19, 0, v40
	v_ashrrev_i32_e32 v38, 31, v38
	v_xor_b32_e32 v37, s18, v37
	v_add_lshl_u32 v58, v2, v3, 2
	v_and_b32_e32 v36, v36, v41
	s_delay_alu instid0(VALU_DEP_4) | instskip(SKIP_2) | instid1(VALU_DEP_1)
	v_xor_b32_e32 v3, s19, v38
	ds_load_b32 v56, v58 offset:32
	v_and_b32_e32 v36, v36, v37
	; wave barrier
	v_and_b32_e32 v3, v36, v3
	s_delay_alu instid0(VALU_DEP_1) | instskip(SKIP_1) | instid1(VALU_DEP_2)
	v_mbcnt_lo_u32_b32 v57, v3, 0
	v_cmp_ne_u32_e64 s19, 0, v3
	v_cmp_eq_u32_e64 s18, 0, v57
	s_delay_alu instid0(VALU_DEP_1) | instskip(NEXT) | instid1(SALU_CYCLE_1)
	s_and_b32 s19, s19, s18
	s_and_saveexec_b32 s18, s19
	s_cbranch_execz .LBB24_43
; %bb.42:
	s_waitcnt lgkmcnt(0)
	v_bcnt_u32_b32 v3, v3, v56
	ds_store_b32 v58, v3 offset:32
.LBB24_43:
	s_or_b32 exec_lo, exec_lo, s18
	v_xor_b32_e32 v15, 0x80000000, v15
	; wave barrier
	s_delay_alu instid0(VALU_DEP_1) | instskip(NEXT) | instid1(VALU_DEP_1)
	v_lshrrev_b64 v[36:37], s48, v[14:15]
	v_and_b32_e32 v3, s55, v36
	s_delay_alu instid0(VALU_DEP_1)
	v_and_b32_e32 v36, 1, v3
	v_lshlrev_b32_e32 v37, 30, v3
	v_lshlrev_b32_e32 v38, 29, v3
	;; [unrolled: 1-line block ×4, first 2 shown]
	v_add_co_u32 v36, s18, v36, -1
	s_delay_alu instid0(VALU_DEP_1)
	v_cndmask_b32_e64 v40, 0, 1, s18
	v_not_b32_e32 v61, v37
	v_cmp_gt_i32_e64 s19, 0, v37
	v_not_b32_e32 v37, v38
	v_lshlrev_b32_e32 v59, 26, v3
	v_cmp_ne_u32_e64 s18, 0, v40
	v_ashrrev_i32_e32 v61, 31, v61
	v_lshlrev_b32_e32 v60, 25, v3
	v_ashrrev_i32_e32 v37, 31, v37
	v_lshlrev_b32_e32 v40, 24, v3
	v_xor_b32_e32 v36, s18, v36
	v_cmp_gt_i32_e64 s18, 0, v38
	v_not_b32_e32 v38, v39
	v_xor_b32_e32 v61, s19, v61
	v_cmp_gt_i32_e64 s19, 0, v39
	v_and_b32_e32 v36, exec_lo, v36
	v_not_b32_e32 v39, v41
	v_ashrrev_i32_e32 v38, 31, v38
	v_xor_b32_e32 v37, s18, v37
	v_cmp_gt_i32_e64 s18, 0, v41
	v_and_b32_e32 v36, v36, v61
	v_not_b32_e32 v41, v59
	v_ashrrev_i32_e32 v39, 31, v39
	v_xor_b32_e32 v38, s19, v38
	v_cmp_gt_i32_e64 s19, 0, v59
	v_and_b32_e32 v36, v36, v37
	;; [unrolled: 5-line block ×3, first 2 shown]
	v_not_b32_e32 v38, v40
	v_ashrrev_i32_e32 v37, 31, v37
	v_xor_b32_e32 v41, s19, v41
	v_lshl_add_u32 v3, v3, 3, v3
	v_and_b32_e32 v36, v36, v39
	v_cmp_gt_i32_e64 s19, 0, v40
	v_ashrrev_i32_e32 v38, 31, v38
	v_xor_b32_e32 v37, s18, v37
	v_add_lshl_u32 v61, v2, v3, 2
	v_and_b32_e32 v36, v36, v41
	s_delay_alu instid0(VALU_DEP_4) | instskip(SKIP_2) | instid1(VALU_DEP_1)
	v_xor_b32_e32 v3, s19, v38
	ds_load_b32 v59, v61 offset:32
	v_and_b32_e32 v36, v36, v37
	; wave barrier
	v_and_b32_e32 v3, v36, v3
	s_delay_alu instid0(VALU_DEP_1) | instskip(SKIP_1) | instid1(VALU_DEP_2)
	v_mbcnt_lo_u32_b32 v60, v3, 0
	v_cmp_ne_u32_e64 s19, 0, v3
	v_cmp_eq_u32_e64 s18, 0, v60
	s_delay_alu instid0(VALU_DEP_1) | instskip(NEXT) | instid1(SALU_CYCLE_1)
	s_and_b32 s19, s19, s18
	s_and_saveexec_b32 s18, s19
	s_cbranch_execz .LBB24_45
; %bb.44:
	s_waitcnt lgkmcnt(0)
	v_bcnt_u32_b32 v3, v3, v59
	ds_store_b32 v61, v3 offset:32
.LBB24_45:
	s_or_b32 exec_lo, exec_lo, s18
	v_xor_b32_e32 v17, 0x80000000, v17
	; wave barrier
	s_delay_alu instid0(VALU_DEP_1) | instskip(NEXT) | instid1(VALU_DEP_1)
	v_lshrrev_b64 v[36:37], s48, v[16:17]
	v_and_b32_e32 v3, s55, v36
	s_delay_alu instid0(VALU_DEP_1)
	v_and_b32_e32 v36, 1, v3
	v_lshlrev_b32_e32 v37, 30, v3
	v_lshlrev_b32_e32 v38, 29, v3
	;; [unrolled: 1-line block ×4, first 2 shown]
	v_add_co_u32 v36, s18, v36, -1
	s_delay_alu instid0(VALU_DEP_1)
	v_cndmask_b32_e64 v40, 0, 1, s18
	v_not_b32_e32 v64, v37
	v_cmp_gt_i32_e64 s19, 0, v37
	v_not_b32_e32 v37, v38
	v_lshlrev_b32_e32 v62, 26, v3
	v_cmp_ne_u32_e64 s18, 0, v40
	v_ashrrev_i32_e32 v64, 31, v64
	v_lshlrev_b32_e32 v63, 25, v3
	v_ashrrev_i32_e32 v37, 31, v37
	v_lshlrev_b32_e32 v40, 24, v3
	v_xor_b32_e32 v36, s18, v36
	v_cmp_gt_i32_e64 s18, 0, v38
	v_not_b32_e32 v38, v39
	v_xor_b32_e32 v64, s19, v64
	v_cmp_gt_i32_e64 s19, 0, v39
	v_and_b32_e32 v36, exec_lo, v36
	v_not_b32_e32 v39, v41
	v_ashrrev_i32_e32 v38, 31, v38
	v_xor_b32_e32 v37, s18, v37
	v_cmp_gt_i32_e64 s18, 0, v41
	v_and_b32_e32 v36, v36, v64
	v_not_b32_e32 v41, v62
	v_ashrrev_i32_e32 v39, 31, v39
	v_xor_b32_e32 v38, s19, v38
	v_cmp_gt_i32_e64 s19, 0, v62
	v_and_b32_e32 v36, v36, v37
	;; [unrolled: 5-line block ×3, first 2 shown]
	v_not_b32_e32 v38, v40
	v_ashrrev_i32_e32 v37, 31, v37
	v_xor_b32_e32 v41, s19, v41
	v_lshl_add_u32 v3, v3, 3, v3
	v_and_b32_e32 v36, v36, v39
	v_cmp_gt_i32_e64 s19, 0, v40
	v_ashrrev_i32_e32 v38, 31, v38
	v_xor_b32_e32 v37, s18, v37
	v_add_lshl_u32 v64, v2, v3, 2
	v_and_b32_e32 v36, v36, v41
	s_delay_alu instid0(VALU_DEP_4) | instskip(SKIP_2) | instid1(VALU_DEP_1)
	v_xor_b32_e32 v3, s19, v38
	ds_load_b32 v62, v64 offset:32
	v_and_b32_e32 v36, v36, v37
	; wave barrier
	v_and_b32_e32 v3, v36, v3
	s_delay_alu instid0(VALU_DEP_1) | instskip(SKIP_1) | instid1(VALU_DEP_2)
	v_mbcnt_lo_u32_b32 v63, v3, 0
	v_cmp_ne_u32_e64 s19, 0, v3
	v_cmp_eq_u32_e64 s18, 0, v63
	s_delay_alu instid0(VALU_DEP_1) | instskip(NEXT) | instid1(SALU_CYCLE_1)
	s_and_b32 s19, s19, s18
	s_and_saveexec_b32 s18, s19
	s_cbranch_execz .LBB24_47
; %bb.46:
	s_waitcnt lgkmcnt(0)
	v_bcnt_u32_b32 v3, v3, v62
	ds_store_b32 v64, v3 offset:32
.LBB24_47:
	s_or_b32 exec_lo, exec_lo, s18
	v_xor_b32_e32 v19, 0x80000000, v19
	; wave barrier
	s_delay_alu instid0(VALU_DEP_1) | instskip(NEXT) | instid1(VALU_DEP_1)
	v_lshrrev_b64 v[36:37], s48, v[18:19]
	v_and_b32_e32 v3, s55, v36
	s_delay_alu instid0(VALU_DEP_1)
	v_and_b32_e32 v36, 1, v3
	v_lshlrev_b32_e32 v37, 30, v3
	v_lshlrev_b32_e32 v38, 29, v3
	;; [unrolled: 1-line block ×4, first 2 shown]
	v_add_co_u32 v36, s18, v36, -1
	s_delay_alu instid0(VALU_DEP_1)
	v_cndmask_b32_e64 v40, 0, 1, s18
	v_not_b32_e32 v67, v37
	v_cmp_gt_i32_e64 s19, 0, v37
	v_not_b32_e32 v37, v38
	v_lshlrev_b32_e32 v65, 26, v3
	v_cmp_ne_u32_e64 s18, 0, v40
	v_ashrrev_i32_e32 v67, 31, v67
	v_lshlrev_b32_e32 v66, 25, v3
	v_ashrrev_i32_e32 v37, 31, v37
	v_lshlrev_b32_e32 v40, 24, v3
	v_xor_b32_e32 v36, s18, v36
	v_cmp_gt_i32_e64 s18, 0, v38
	v_not_b32_e32 v38, v39
	v_xor_b32_e32 v67, s19, v67
	v_cmp_gt_i32_e64 s19, 0, v39
	v_and_b32_e32 v36, exec_lo, v36
	v_not_b32_e32 v39, v41
	v_ashrrev_i32_e32 v38, 31, v38
	v_xor_b32_e32 v37, s18, v37
	v_cmp_gt_i32_e64 s18, 0, v41
	v_and_b32_e32 v36, v36, v67
	v_not_b32_e32 v41, v65
	v_ashrrev_i32_e32 v39, 31, v39
	v_xor_b32_e32 v38, s19, v38
	v_cmp_gt_i32_e64 s19, 0, v65
	v_and_b32_e32 v36, v36, v37
	;; [unrolled: 5-line block ×3, first 2 shown]
	v_not_b32_e32 v38, v40
	v_ashrrev_i32_e32 v37, 31, v37
	v_xor_b32_e32 v41, s19, v41
	v_lshl_add_u32 v3, v3, 3, v3
	v_and_b32_e32 v36, v36, v39
	v_cmp_gt_i32_e64 s19, 0, v40
	v_ashrrev_i32_e32 v38, 31, v38
	v_xor_b32_e32 v37, s18, v37
	v_add_lshl_u32 v67, v2, v3, 2
	v_and_b32_e32 v36, v36, v41
	s_delay_alu instid0(VALU_DEP_4) | instskip(SKIP_2) | instid1(VALU_DEP_1)
	v_xor_b32_e32 v3, s19, v38
	ds_load_b32 v65, v67 offset:32
	v_and_b32_e32 v36, v36, v37
	; wave barrier
	v_and_b32_e32 v3, v36, v3
	s_delay_alu instid0(VALU_DEP_1) | instskip(SKIP_1) | instid1(VALU_DEP_2)
	v_mbcnt_lo_u32_b32 v66, v3, 0
	v_cmp_ne_u32_e64 s19, 0, v3
	v_cmp_eq_u32_e64 s18, 0, v66
	s_delay_alu instid0(VALU_DEP_1) | instskip(NEXT) | instid1(SALU_CYCLE_1)
	s_and_b32 s19, s19, s18
	s_and_saveexec_b32 s18, s19
	s_cbranch_execz .LBB24_49
; %bb.48:
	s_waitcnt lgkmcnt(0)
	v_bcnt_u32_b32 v3, v3, v65
	ds_store_b32 v67, v3 offset:32
.LBB24_49:
	s_or_b32 exec_lo, exec_lo, s18
	v_xor_b32_e32 v21, 0x80000000, v21
	; wave barrier
	s_delay_alu instid0(VALU_DEP_1) | instskip(NEXT) | instid1(VALU_DEP_1)
	v_lshrrev_b64 v[36:37], s48, v[20:21]
	v_and_b32_e32 v3, s55, v36
	s_delay_alu instid0(VALU_DEP_1)
	v_and_b32_e32 v36, 1, v3
	v_lshlrev_b32_e32 v37, 30, v3
	v_lshlrev_b32_e32 v38, 29, v3
	;; [unrolled: 1-line block ×4, first 2 shown]
	v_add_co_u32 v36, s18, v36, -1
	s_delay_alu instid0(VALU_DEP_1)
	v_cndmask_b32_e64 v40, 0, 1, s18
	v_not_b32_e32 v70, v37
	v_cmp_gt_i32_e64 s19, 0, v37
	v_not_b32_e32 v37, v38
	v_lshlrev_b32_e32 v68, 26, v3
	v_cmp_ne_u32_e64 s18, 0, v40
	v_ashrrev_i32_e32 v70, 31, v70
	v_lshlrev_b32_e32 v69, 25, v3
	v_ashrrev_i32_e32 v37, 31, v37
	v_lshlrev_b32_e32 v40, 24, v3
	v_xor_b32_e32 v36, s18, v36
	v_cmp_gt_i32_e64 s18, 0, v38
	v_not_b32_e32 v38, v39
	v_xor_b32_e32 v70, s19, v70
	v_cmp_gt_i32_e64 s19, 0, v39
	v_and_b32_e32 v36, exec_lo, v36
	v_not_b32_e32 v39, v41
	v_ashrrev_i32_e32 v38, 31, v38
	v_xor_b32_e32 v37, s18, v37
	v_cmp_gt_i32_e64 s18, 0, v41
	v_and_b32_e32 v36, v36, v70
	v_not_b32_e32 v41, v68
	v_ashrrev_i32_e32 v39, 31, v39
	v_xor_b32_e32 v38, s19, v38
	v_cmp_gt_i32_e64 s19, 0, v68
	v_and_b32_e32 v36, v36, v37
	;; [unrolled: 5-line block ×3, first 2 shown]
	v_not_b32_e32 v38, v40
	v_ashrrev_i32_e32 v37, 31, v37
	v_xor_b32_e32 v41, s19, v41
	v_lshl_add_u32 v3, v3, 3, v3
	v_and_b32_e32 v36, v36, v39
	v_cmp_gt_i32_e64 s19, 0, v40
	v_ashrrev_i32_e32 v38, 31, v38
	v_xor_b32_e32 v37, s18, v37
	v_add_lshl_u32 v70, v2, v3, 2
	v_and_b32_e32 v36, v36, v41
	s_delay_alu instid0(VALU_DEP_4) | instskip(SKIP_2) | instid1(VALU_DEP_1)
	v_xor_b32_e32 v3, s19, v38
	ds_load_b32 v68, v70 offset:32
	v_and_b32_e32 v36, v36, v37
	; wave barrier
	v_and_b32_e32 v3, v36, v3
	s_delay_alu instid0(VALU_DEP_1) | instskip(SKIP_1) | instid1(VALU_DEP_2)
	v_mbcnt_lo_u32_b32 v69, v3, 0
	v_cmp_ne_u32_e64 s19, 0, v3
	v_cmp_eq_u32_e64 s18, 0, v69
	s_delay_alu instid0(VALU_DEP_1) | instskip(NEXT) | instid1(SALU_CYCLE_1)
	s_and_b32 s19, s19, s18
	s_and_saveexec_b32 s18, s19
	s_cbranch_execz .LBB24_51
; %bb.50:
	s_waitcnt lgkmcnt(0)
	v_bcnt_u32_b32 v3, v3, v68
	ds_store_b32 v70, v3 offset:32
.LBB24_51:
	s_or_b32 exec_lo, exec_lo, s18
	v_xor_b32_e32 v23, 0x80000000, v23
	; wave barrier
	s_delay_alu instid0(VALU_DEP_1) | instskip(NEXT) | instid1(VALU_DEP_1)
	v_lshrrev_b64 v[36:37], s48, v[22:23]
	v_and_b32_e32 v3, s55, v36
	s_delay_alu instid0(VALU_DEP_1)
	v_and_b32_e32 v36, 1, v3
	v_lshlrev_b32_e32 v37, 30, v3
	v_lshlrev_b32_e32 v38, 29, v3
	;; [unrolled: 1-line block ×4, first 2 shown]
	v_add_co_u32 v36, s18, v36, -1
	s_delay_alu instid0(VALU_DEP_1)
	v_cndmask_b32_e64 v40, 0, 1, s18
	v_not_b32_e32 v73, v37
	v_cmp_gt_i32_e64 s19, 0, v37
	v_not_b32_e32 v37, v38
	v_lshlrev_b32_e32 v71, 26, v3
	v_cmp_ne_u32_e64 s18, 0, v40
	v_ashrrev_i32_e32 v73, 31, v73
	v_lshlrev_b32_e32 v72, 25, v3
	v_ashrrev_i32_e32 v37, 31, v37
	v_lshlrev_b32_e32 v40, 24, v3
	v_xor_b32_e32 v36, s18, v36
	v_cmp_gt_i32_e64 s18, 0, v38
	v_not_b32_e32 v38, v39
	v_xor_b32_e32 v73, s19, v73
	v_cmp_gt_i32_e64 s19, 0, v39
	v_and_b32_e32 v36, exec_lo, v36
	v_not_b32_e32 v39, v41
	v_ashrrev_i32_e32 v38, 31, v38
	v_xor_b32_e32 v37, s18, v37
	v_cmp_gt_i32_e64 s18, 0, v41
	v_and_b32_e32 v36, v36, v73
	v_not_b32_e32 v41, v71
	v_ashrrev_i32_e32 v39, 31, v39
	v_xor_b32_e32 v38, s19, v38
	v_cmp_gt_i32_e64 s19, 0, v71
	v_and_b32_e32 v36, v36, v37
	;; [unrolled: 5-line block ×3, first 2 shown]
	v_not_b32_e32 v38, v40
	v_ashrrev_i32_e32 v37, 31, v37
	v_xor_b32_e32 v41, s19, v41
	v_lshl_add_u32 v3, v3, 3, v3
	v_and_b32_e32 v36, v36, v39
	v_cmp_gt_i32_e64 s19, 0, v40
	v_ashrrev_i32_e32 v38, 31, v38
	v_xor_b32_e32 v37, s18, v37
	v_add_lshl_u32 v73, v2, v3, 2
	v_and_b32_e32 v36, v36, v41
	s_delay_alu instid0(VALU_DEP_4) | instskip(SKIP_2) | instid1(VALU_DEP_1)
	v_xor_b32_e32 v3, s19, v38
	ds_load_b32 v71, v73 offset:32
	v_and_b32_e32 v36, v36, v37
	; wave barrier
	v_and_b32_e32 v3, v36, v3
	s_delay_alu instid0(VALU_DEP_1) | instskip(SKIP_1) | instid1(VALU_DEP_2)
	v_mbcnt_lo_u32_b32 v72, v3, 0
	v_cmp_ne_u32_e64 s19, 0, v3
	v_cmp_eq_u32_e64 s18, 0, v72
	s_delay_alu instid0(VALU_DEP_1) | instskip(NEXT) | instid1(SALU_CYCLE_1)
	s_and_b32 s19, s19, s18
	s_and_saveexec_b32 s18, s19
	s_cbranch_execz .LBB24_53
; %bb.52:
	s_waitcnt lgkmcnt(0)
	v_bcnt_u32_b32 v3, v3, v71
	ds_store_b32 v73, v3 offset:32
.LBB24_53:
	s_or_b32 exec_lo, exec_lo, s18
	v_xor_b32_e32 v25, 0x80000000, v25
	; wave barrier
	s_delay_alu instid0(VALU_DEP_1) | instskip(NEXT) | instid1(VALU_DEP_1)
	v_lshrrev_b64 v[36:37], s48, v[24:25]
	v_and_b32_e32 v3, s55, v36
	s_delay_alu instid0(VALU_DEP_1)
	v_and_b32_e32 v36, 1, v3
	v_lshlrev_b32_e32 v37, 30, v3
	v_lshlrev_b32_e32 v38, 29, v3
	;; [unrolled: 1-line block ×4, first 2 shown]
	v_add_co_u32 v36, s18, v36, -1
	s_delay_alu instid0(VALU_DEP_1)
	v_cndmask_b32_e64 v40, 0, 1, s18
	v_not_b32_e32 v76, v37
	v_cmp_gt_i32_e64 s19, 0, v37
	v_not_b32_e32 v37, v38
	v_lshlrev_b32_e32 v74, 26, v3
	v_cmp_ne_u32_e64 s18, 0, v40
	v_ashrrev_i32_e32 v76, 31, v76
	v_lshlrev_b32_e32 v75, 25, v3
	v_ashrrev_i32_e32 v37, 31, v37
	v_lshlrev_b32_e32 v40, 24, v3
	v_xor_b32_e32 v36, s18, v36
	v_cmp_gt_i32_e64 s18, 0, v38
	v_not_b32_e32 v38, v39
	v_xor_b32_e32 v76, s19, v76
	v_cmp_gt_i32_e64 s19, 0, v39
	v_and_b32_e32 v36, exec_lo, v36
	v_not_b32_e32 v39, v41
	v_ashrrev_i32_e32 v38, 31, v38
	v_xor_b32_e32 v37, s18, v37
	v_cmp_gt_i32_e64 s18, 0, v41
	v_and_b32_e32 v36, v36, v76
	v_not_b32_e32 v41, v74
	v_ashrrev_i32_e32 v39, 31, v39
	v_xor_b32_e32 v38, s19, v38
	v_cmp_gt_i32_e64 s19, 0, v74
	v_and_b32_e32 v36, v36, v37
	;; [unrolled: 5-line block ×3, first 2 shown]
	v_not_b32_e32 v38, v40
	v_ashrrev_i32_e32 v37, 31, v37
	v_xor_b32_e32 v41, s19, v41
	v_lshl_add_u32 v3, v3, 3, v3
	v_and_b32_e32 v36, v36, v39
	v_cmp_gt_i32_e64 s19, 0, v40
	v_ashrrev_i32_e32 v38, 31, v38
	v_xor_b32_e32 v37, s18, v37
	v_add_lshl_u32 v76, v2, v3, 2
	v_and_b32_e32 v36, v36, v41
	s_delay_alu instid0(VALU_DEP_4) | instskip(SKIP_2) | instid1(VALU_DEP_1)
	v_xor_b32_e32 v3, s19, v38
	ds_load_b32 v74, v76 offset:32
	v_and_b32_e32 v36, v36, v37
	; wave barrier
	v_and_b32_e32 v3, v36, v3
	s_delay_alu instid0(VALU_DEP_1) | instskip(SKIP_1) | instid1(VALU_DEP_2)
	v_mbcnt_lo_u32_b32 v75, v3, 0
	v_cmp_ne_u32_e64 s19, 0, v3
	v_cmp_eq_u32_e64 s18, 0, v75
	s_delay_alu instid0(VALU_DEP_1) | instskip(NEXT) | instid1(SALU_CYCLE_1)
	s_and_b32 s19, s19, s18
	s_and_saveexec_b32 s18, s19
	s_cbranch_execz .LBB24_55
; %bb.54:
	s_waitcnt lgkmcnt(0)
	v_bcnt_u32_b32 v3, v3, v74
	ds_store_b32 v76, v3 offset:32
.LBB24_55:
	s_or_b32 exec_lo, exec_lo, s18
	v_xor_b32_e32 v27, 0x80000000, v27
	; wave barrier
	s_delay_alu instid0(VALU_DEP_1) | instskip(NEXT) | instid1(VALU_DEP_1)
	v_lshrrev_b64 v[36:37], s48, v[26:27]
	v_and_b32_e32 v3, s55, v36
	s_delay_alu instid0(VALU_DEP_1)
	v_and_b32_e32 v36, 1, v3
	v_lshlrev_b32_e32 v37, 30, v3
	v_lshlrev_b32_e32 v38, 29, v3
	v_lshlrev_b32_e32 v39, 28, v3
	v_lshlrev_b32_e32 v41, 27, v3
	v_add_co_u32 v36, s18, v36, -1
	s_delay_alu instid0(VALU_DEP_1)
	v_cndmask_b32_e64 v40, 0, 1, s18
	v_not_b32_e32 v79, v37
	v_cmp_gt_i32_e64 s19, 0, v37
	v_not_b32_e32 v37, v38
	v_lshlrev_b32_e32 v77, 26, v3
	v_cmp_ne_u32_e64 s18, 0, v40
	v_ashrrev_i32_e32 v79, 31, v79
	v_lshlrev_b32_e32 v78, 25, v3
	v_ashrrev_i32_e32 v37, 31, v37
	v_lshlrev_b32_e32 v40, 24, v3
	v_xor_b32_e32 v36, s18, v36
	v_cmp_gt_i32_e64 s18, 0, v38
	v_not_b32_e32 v38, v39
	v_xor_b32_e32 v79, s19, v79
	v_cmp_gt_i32_e64 s19, 0, v39
	v_and_b32_e32 v36, exec_lo, v36
	v_not_b32_e32 v39, v41
	v_ashrrev_i32_e32 v38, 31, v38
	v_xor_b32_e32 v37, s18, v37
	v_cmp_gt_i32_e64 s18, 0, v41
	v_and_b32_e32 v36, v36, v79
	v_not_b32_e32 v41, v77
	v_ashrrev_i32_e32 v39, 31, v39
	v_xor_b32_e32 v38, s19, v38
	v_cmp_gt_i32_e64 s19, 0, v77
	v_and_b32_e32 v36, v36, v37
	;; [unrolled: 5-line block ×3, first 2 shown]
	v_not_b32_e32 v38, v40
	v_ashrrev_i32_e32 v37, 31, v37
	v_xor_b32_e32 v41, s19, v41
	v_lshl_add_u32 v3, v3, 3, v3
	v_and_b32_e32 v36, v36, v39
	v_cmp_gt_i32_e64 s19, 0, v40
	v_ashrrev_i32_e32 v38, 31, v38
	v_xor_b32_e32 v37, s18, v37
	v_add_lshl_u32 v79, v2, v3, 2
	v_and_b32_e32 v36, v36, v41
	s_delay_alu instid0(VALU_DEP_4) | instskip(SKIP_2) | instid1(VALU_DEP_1)
	v_xor_b32_e32 v3, s19, v38
	ds_load_b32 v77, v79 offset:32
	v_and_b32_e32 v36, v36, v37
	; wave barrier
	v_and_b32_e32 v3, v36, v3
	s_delay_alu instid0(VALU_DEP_1) | instskip(SKIP_1) | instid1(VALU_DEP_2)
	v_mbcnt_lo_u32_b32 v78, v3, 0
	v_cmp_ne_u32_e64 s19, 0, v3
	v_cmp_eq_u32_e64 s18, 0, v78
	s_delay_alu instid0(VALU_DEP_1) | instskip(NEXT) | instid1(SALU_CYCLE_1)
	s_and_b32 s19, s19, s18
	s_and_saveexec_b32 s18, s19
	s_cbranch_execz .LBB24_57
; %bb.56:
	s_waitcnt lgkmcnt(0)
	v_bcnt_u32_b32 v3, v3, v77
	ds_store_b32 v79, v3 offset:32
.LBB24_57:
	s_or_b32 exec_lo, exec_lo, s18
	v_xor_b32_e32 v29, 0x80000000, v29
	; wave barrier
	s_delay_alu instid0(VALU_DEP_1) | instskip(NEXT) | instid1(VALU_DEP_1)
	v_lshrrev_b64 v[36:37], s48, v[28:29]
	v_and_b32_e32 v3, s55, v36
	s_delay_alu instid0(VALU_DEP_1)
	v_and_b32_e32 v36, 1, v3
	v_lshlrev_b32_e32 v37, 30, v3
	v_lshlrev_b32_e32 v38, 29, v3
	;; [unrolled: 1-line block ×4, first 2 shown]
	v_add_co_u32 v36, s18, v36, -1
	s_delay_alu instid0(VALU_DEP_1)
	v_cndmask_b32_e64 v40, 0, 1, s18
	v_not_b32_e32 v82, v37
	v_cmp_gt_i32_e64 s19, 0, v37
	v_not_b32_e32 v37, v38
	v_lshlrev_b32_e32 v80, 26, v3
	v_cmp_ne_u32_e64 s18, 0, v40
	v_ashrrev_i32_e32 v82, 31, v82
	v_lshlrev_b32_e32 v81, 25, v3
	v_ashrrev_i32_e32 v37, 31, v37
	v_lshlrev_b32_e32 v40, 24, v3
	v_xor_b32_e32 v36, s18, v36
	v_cmp_gt_i32_e64 s18, 0, v38
	v_not_b32_e32 v38, v39
	v_xor_b32_e32 v82, s19, v82
	v_cmp_gt_i32_e64 s19, 0, v39
	v_and_b32_e32 v36, exec_lo, v36
	v_not_b32_e32 v39, v41
	v_ashrrev_i32_e32 v38, 31, v38
	v_xor_b32_e32 v37, s18, v37
	v_cmp_gt_i32_e64 s18, 0, v41
	v_and_b32_e32 v36, v36, v82
	v_not_b32_e32 v41, v80
	v_ashrrev_i32_e32 v39, 31, v39
	v_xor_b32_e32 v38, s19, v38
	v_cmp_gt_i32_e64 s19, 0, v80
	v_and_b32_e32 v36, v36, v37
	;; [unrolled: 5-line block ×3, first 2 shown]
	v_not_b32_e32 v38, v40
	v_ashrrev_i32_e32 v37, 31, v37
	v_xor_b32_e32 v41, s19, v41
	v_lshl_add_u32 v3, v3, 3, v3
	v_and_b32_e32 v36, v36, v39
	v_cmp_gt_i32_e64 s19, 0, v40
	v_ashrrev_i32_e32 v38, 31, v38
	v_xor_b32_e32 v37, s18, v37
	v_add_lshl_u32 v82, v2, v3, 2
	v_and_b32_e32 v36, v36, v41
	s_delay_alu instid0(VALU_DEP_4) | instskip(SKIP_2) | instid1(VALU_DEP_1)
	v_xor_b32_e32 v3, s19, v38
	ds_load_b32 v80, v82 offset:32
	v_and_b32_e32 v36, v36, v37
	; wave barrier
	v_and_b32_e32 v3, v36, v3
	s_delay_alu instid0(VALU_DEP_1) | instskip(SKIP_1) | instid1(VALU_DEP_2)
	v_mbcnt_lo_u32_b32 v81, v3, 0
	v_cmp_ne_u32_e64 s19, 0, v3
	v_cmp_eq_u32_e64 s18, 0, v81
	s_delay_alu instid0(VALU_DEP_1) | instskip(NEXT) | instid1(SALU_CYCLE_1)
	s_and_b32 s19, s19, s18
	s_and_saveexec_b32 s18, s19
	s_cbranch_execz .LBB24_59
; %bb.58:
	s_waitcnt lgkmcnt(0)
	v_bcnt_u32_b32 v3, v3, v80
	ds_store_b32 v82, v3 offset:32
.LBB24_59:
	s_or_b32 exec_lo, exec_lo, s18
	v_xor_b32_e32 v31, 0x80000000, v31
	; wave barrier
	s_delay_alu instid0(VALU_DEP_1) | instskip(NEXT) | instid1(VALU_DEP_1)
	v_lshrrev_b64 v[36:37], s48, v[30:31]
	v_and_b32_e32 v3, s55, v36
	s_delay_alu instid0(VALU_DEP_1)
	v_and_b32_e32 v36, 1, v3
	v_lshlrev_b32_e32 v37, 30, v3
	v_lshlrev_b32_e32 v38, 29, v3
	;; [unrolled: 1-line block ×4, first 2 shown]
	v_add_co_u32 v36, s18, v36, -1
	s_delay_alu instid0(VALU_DEP_1)
	v_cndmask_b32_e64 v40, 0, 1, s18
	v_not_b32_e32 v85, v37
	v_cmp_gt_i32_e64 s19, 0, v37
	v_not_b32_e32 v37, v38
	v_lshlrev_b32_e32 v83, 26, v3
	v_cmp_ne_u32_e64 s18, 0, v40
	v_ashrrev_i32_e32 v85, 31, v85
	v_lshlrev_b32_e32 v84, 25, v3
	v_ashrrev_i32_e32 v37, 31, v37
	v_lshlrev_b32_e32 v40, 24, v3
	v_xor_b32_e32 v36, s18, v36
	v_cmp_gt_i32_e64 s18, 0, v38
	v_not_b32_e32 v38, v39
	v_xor_b32_e32 v85, s19, v85
	v_cmp_gt_i32_e64 s19, 0, v39
	v_and_b32_e32 v36, exec_lo, v36
	v_not_b32_e32 v39, v41
	v_ashrrev_i32_e32 v38, 31, v38
	v_xor_b32_e32 v37, s18, v37
	v_cmp_gt_i32_e64 s18, 0, v41
	v_and_b32_e32 v36, v36, v85
	v_not_b32_e32 v41, v83
	v_ashrrev_i32_e32 v39, 31, v39
	v_xor_b32_e32 v38, s19, v38
	v_cmp_gt_i32_e64 s19, 0, v83
	v_and_b32_e32 v36, v36, v37
	;; [unrolled: 5-line block ×3, first 2 shown]
	v_not_b32_e32 v38, v40
	v_ashrrev_i32_e32 v37, 31, v37
	v_xor_b32_e32 v41, s19, v41
	v_lshl_add_u32 v3, v3, 3, v3
	v_and_b32_e32 v36, v36, v39
	v_cmp_gt_i32_e64 s19, 0, v40
	v_ashrrev_i32_e32 v38, 31, v38
	v_xor_b32_e32 v37, s18, v37
	v_add_lshl_u32 v85, v2, v3, 2
	v_and_b32_e32 v36, v36, v41
	s_delay_alu instid0(VALU_DEP_4) | instskip(SKIP_2) | instid1(VALU_DEP_1)
	v_xor_b32_e32 v3, s19, v38
	ds_load_b32 v83, v85 offset:32
	v_and_b32_e32 v36, v36, v37
	; wave barrier
	v_and_b32_e32 v3, v36, v3
	s_delay_alu instid0(VALU_DEP_1) | instskip(SKIP_1) | instid1(VALU_DEP_2)
	v_mbcnt_lo_u32_b32 v84, v3, 0
	v_cmp_ne_u32_e64 s19, 0, v3
	v_cmp_eq_u32_e64 s18, 0, v84
	s_delay_alu instid0(VALU_DEP_1) | instskip(NEXT) | instid1(SALU_CYCLE_1)
	s_and_b32 s19, s19, s18
	s_and_saveexec_b32 s18, s19
	s_cbranch_execz .LBB24_61
; %bb.60:
	s_waitcnt lgkmcnt(0)
	v_bcnt_u32_b32 v3, v3, v83
	ds_store_b32 v85, v3 offset:32
.LBB24_61:
	s_or_b32 exec_lo, exec_lo, s18
	v_xor_b32_e32 v33, 0x80000000, v33
	; wave barrier
	s_delay_alu instid0(VALU_DEP_1) | instskip(NEXT) | instid1(VALU_DEP_1)
	v_lshrrev_b64 v[36:37], s48, v[32:33]
	v_and_b32_e32 v3, s55, v36
	s_delay_alu instid0(VALU_DEP_1)
	v_and_b32_e32 v36, 1, v3
	v_lshlrev_b32_e32 v37, 30, v3
	v_lshlrev_b32_e32 v38, 29, v3
	;; [unrolled: 1-line block ×4, first 2 shown]
	v_add_co_u32 v36, s18, v36, -1
	s_delay_alu instid0(VALU_DEP_1)
	v_cndmask_b32_e64 v40, 0, 1, s18
	v_not_b32_e32 v88, v37
	v_cmp_gt_i32_e64 s19, 0, v37
	v_not_b32_e32 v37, v38
	v_lshlrev_b32_e32 v86, 26, v3
	v_cmp_ne_u32_e64 s18, 0, v40
	v_ashrrev_i32_e32 v88, 31, v88
	v_lshlrev_b32_e32 v87, 25, v3
	v_ashrrev_i32_e32 v37, 31, v37
	v_lshlrev_b32_e32 v40, 24, v3
	v_xor_b32_e32 v36, s18, v36
	v_cmp_gt_i32_e64 s18, 0, v38
	v_not_b32_e32 v38, v39
	v_xor_b32_e32 v88, s19, v88
	v_cmp_gt_i32_e64 s19, 0, v39
	v_and_b32_e32 v36, exec_lo, v36
	v_not_b32_e32 v39, v41
	v_ashrrev_i32_e32 v38, 31, v38
	v_xor_b32_e32 v37, s18, v37
	v_cmp_gt_i32_e64 s18, 0, v41
	v_and_b32_e32 v36, v36, v88
	v_not_b32_e32 v41, v86
	v_ashrrev_i32_e32 v39, 31, v39
	v_xor_b32_e32 v38, s19, v38
	v_cmp_gt_i32_e64 s19, 0, v86
	v_and_b32_e32 v36, v36, v37
	;; [unrolled: 5-line block ×3, first 2 shown]
	v_not_b32_e32 v38, v40
	v_ashrrev_i32_e32 v37, 31, v37
	v_xor_b32_e32 v41, s19, v41
	v_lshl_add_u32 v3, v3, 3, v3
	v_and_b32_e32 v36, v36, v39
	v_cmp_gt_i32_e64 s19, 0, v40
	v_ashrrev_i32_e32 v38, 31, v38
	v_xor_b32_e32 v37, s18, v37
	v_add_lshl_u32 v88, v2, v3, 2
	v_and_b32_e32 v36, v36, v41
	s_delay_alu instid0(VALU_DEP_4) | instskip(SKIP_2) | instid1(VALU_DEP_1)
	v_xor_b32_e32 v3, s19, v38
	ds_load_b32 v86, v88 offset:32
	v_and_b32_e32 v36, v36, v37
	; wave barrier
	v_and_b32_e32 v3, v36, v3
	s_delay_alu instid0(VALU_DEP_1) | instskip(SKIP_1) | instid1(VALU_DEP_2)
	v_mbcnt_lo_u32_b32 v87, v3, 0
	v_cmp_ne_u32_e64 s19, 0, v3
	v_cmp_eq_u32_e64 s18, 0, v87
	s_delay_alu instid0(VALU_DEP_1) | instskip(NEXT) | instid1(SALU_CYCLE_1)
	s_and_b32 s19, s19, s18
	s_and_saveexec_b32 s18, s19
	s_cbranch_execz .LBB24_63
; %bb.62:
	s_waitcnt lgkmcnt(0)
	v_bcnt_u32_b32 v3, v3, v86
	ds_store_b32 v88, v3 offset:32
.LBB24_63:
	s_or_b32 exec_lo, exec_lo, s18
	v_xor_b32_e32 v35, 0x80000000, v35
	; wave barrier
	v_add_nc_u32_e32 v92, 32, v45
	s_delay_alu instid0(VALU_DEP_2) | instskip(NEXT) | instid1(VALU_DEP_1)
	v_lshrrev_b64 v[36:37], s48, v[34:35]
	v_and_b32_e32 v3, s55, v36
	s_delay_alu instid0(VALU_DEP_1)
	v_and_b32_e32 v36, 1, v3
	v_lshlrev_b32_e32 v37, 30, v3
	v_lshlrev_b32_e32 v38, 29, v3
	v_lshlrev_b32_e32 v39, 28, v3
	v_lshlrev_b32_e32 v41, 27, v3
	v_add_co_u32 v36, s18, v36, -1
	s_delay_alu instid0(VALU_DEP_1)
	v_cndmask_b32_e64 v40, 0, 1, s18
	v_not_b32_e32 v91, v37
	v_cmp_gt_i32_e64 s19, 0, v37
	v_not_b32_e32 v37, v38
	v_lshlrev_b32_e32 v89, 26, v3
	v_cmp_ne_u32_e64 s18, 0, v40
	v_ashrrev_i32_e32 v91, 31, v91
	v_lshlrev_b32_e32 v90, 25, v3
	v_ashrrev_i32_e32 v37, 31, v37
	v_lshlrev_b32_e32 v40, 24, v3
	v_xor_b32_e32 v36, s18, v36
	v_cmp_gt_i32_e64 s18, 0, v38
	v_not_b32_e32 v38, v39
	v_xor_b32_e32 v91, s19, v91
	v_cmp_gt_i32_e64 s19, 0, v39
	v_and_b32_e32 v36, exec_lo, v36
	v_not_b32_e32 v39, v41
	v_ashrrev_i32_e32 v38, 31, v38
	v_xor_b32_e32 v37, s18, v37
	v_cmp_gt_i32_e64 s18, 0, v41
	v_and_b32_e32 v36, v36, v91
	v_not_b32_e32 v41, v89
	v_ashrrev_i32_e32 v39, 31, v39
	v_xor_b32_e32 v38, s19, v38
	v_cmp_gt_i32_e64 s19, 0, v89
	v_and_b32_e32 v36, v36, v37
	;; [unrolled: 5-line block ×3, first 2 shown]
	v_not_b32_e32 v38, v40
	v_ashrrev_i32_e32 v37, 31, v37
	v_xor_b32_e32 v41, s19, v41
	v_lshl_add_u32 v3, v3, 3, v3
	v_and_b32_e32 v36, v36, v39
	v_cmp_gt_i32_e64 s19, 0, v40
	v_ashrrev_i32_e32 v38, 31, v38
	v_xor_b32_e32 v37, s18, v37
	v_add_lshl_u32 v91, v2, v3, 2
	v_and_b32_e32 v36, v36, v41
	s_delay_alu instid0(VALU_DEP_4) | instskip(SKIP_2) | instid1(VALU_DEP_1)
	v_xor_b32_e32 v2, s19, v38
	ds_load_b32 v89, v91 offset:32
	v_and_b32_e32 v3, v36, v37
	; wave barrier
	v_and_b32_e32 v2, v3, v2
	s_delay_alu instid0(VALU_DEP_1) | instskip(SKIP_1) | instid1(VALU_DEP_2)
	v_mbcnt_lo_u32_b32 v90, v2, 0
	v_cmp_ne_u32_e64 s19, 0, v2
	v_cmp_eq_u32_e64 s18, 0, v90
	s_delay_alu instid0(VALU_DEP_1) | instskip(NEXT) | instid1(SALU_CYCLE_1)
	s_and_b32 s19, s19, s18
	s_and_saveexec_b32 s18, s19
	s_cbranch_execz .LBB24_65
; %bb.64:
	s_waitcnt lgkmcnt(0)
	v_bcnt_u32_b32 v2, v2, v89
	ds_store_b32 v91, v2 offset:32
.LBB24_65:
	s_or_b32 exec_lo, exec_lo, s18
	; wave barrier
	s_waitcnt lgkmcnt(0)
	s_barrier
	buffer_gl0_inv
	ds_load_2addr_b32 v[40:41], v45 offset0:8 offset1:9
	ds_load_2addr_b32 v[38:39], v92 offset0:2 offset1:3
	;; [unrolled: 1-line block ×4, first 2 shown]
	ds_load_b32 v93, v92 offset:32
	v_bfe_i32 v96, v42, 4, 1
	s_mov_b32 s19, exec_lo
	s_waitcnt lgkmcnt(3)
	v_add3_u32 v94, v41, v40, v38
	s_waitcnt lgkmcnt(2)
	s_delay_alu instid0(VALU_DEP_1) | instskip(SKIP_1) | instid1(VALU_DEP_1)
	v_add3_u32 v94, v94, v39, v36
	s_waitcnt lgkmcnt(1)
	v_add3_u32 v94, v94, v37, v2
	s_waitcnt lgkmcnt(0)
	s_delay_alu instid0(VALU_DEP_1) | instskip(SKIP_1) | instid1(VALU_DEP_2)
	v_add3_u32 v93, v94, v3, v93
	v_and_b32_e32 v94, 15, v42
	v_mov_b32_dpp v95, v93 row_shr:1 row_mask:0xf bank_mask:0xf
	s_delay_alu instid0(VALU_DEP_2) | instskip(NEXT) | instid1(VALU_DEP_1)
	v_cmp_ne_u32_e64 s18, 0, v94
	v_cndmask_b32_e64 v95, 0, v95, s18
	v_cmp_lt_u32_e64 s18, 1, v94
	s_delay_alu instid0(VALU_DEP_2) | instskip(NEXT) | instid1(VALU_DEP_1)
	v_add_nc_u32_e32 v93, v95, v93
	v_mov_b32_dpp v95, v93 row_shr:2 row_mask:0xf bank_mask:0xf
	s_delay_alu instid0(VALU_DEP_1) | instskip(SKIP_1) | instid1(VALU_DEP_2)
	v_cndmask_b32_e64 v95, 0, v95, s18
	v_cmp_lt_u32_e64 s18, 3, v94
	v_add_nc_u32_e32 v93, v93, v95
	s_delay_alu instid0(VALU_DEP_1) | instskip(NEXT) | instid1(VALU_DEP_1)
	v_mov_b32_dpp v95, v93 row_shr:4 row_mask:0xf bank_mask:0xf
	v_cndmask_b32_e64 v95, 0, v95, s18
	v_cmp_lt_u32_e64 s18, 7, v94
	s_delay_alu instid0(VALU_DEP_2) | instskip(NEXT) | instid1(VALU_DEP_1)
	v_add_nc_u32_e32 v93, v93, v95
	v_mov_b32_dpp v95, v93 row_shr:8 row_mask:0xf bank_mask:0xf
	s_delay_alu instid0(VALU_DEP_1) | instskip(SKIP_1) | instid1(VALU_DEP_2)
	v_cndmask_b32_e64 v94, 0, v95, s18
	v_and_b32_e32 v95, 0x3e0, v1
	v_add_nc_u32_e32 v93, v93, v94
	s_delay_alu instid0(VALU_DEP_2)
	v_min_u32_e32 v95, 0xe0, v95
	ds_swizzle_b32 v94, v93 offset:swizzle(BROADCAST,32,15)
	v_or_b32_e32 v95, 31, v95
	s_waitcnt lgkmcnt(0)
	v_and_b32_e32 v96, v96, v94
	v_lshrrev_b32_e32 v94, 5, v1
	s_delay_alu instid0(VALU_DEP_2)
	v_add_nc_u32_e32 v93, v93, v96
	v_cmpx_eq_u32_e64 v95, v1
	s_cbranch_execz .LBB24_67
; %bb.66:
	s_delay_alu instid0(VALU_DEP_3)
	v_lshlrev_b32_e32 v95, 2, v94
	ds_store_b32 v95, v93
.LBB24_67:
	s_or_b32 exec_lo, exec_lo, s19
	s_delay_alu instid0(SALU_CYCLE_1)
	s_mov_b32 s19, exec_lo
	s_waitcnt lgkmcnt(0)
	s_barrier
	buffer_gl0_inv
	v_cmpx_gt_u32_e32 8, v1
	s_cbranch_execz .LBB24_69
; %bb.68:
	v_lshlrev_b32_e32 v95, 2, v1
	v_and_b32_e32 v97, 7, v42
	ds_load_b32 v96, v95
	v_cmp_ne_u32_e64 s18, 0, v97
	s_waitcnt lgkmcnt(0)
	v_mov_b32_dpp v98, v96 row_shr:1 row_mask:0xf bank_mask:0xf
	s_delay_alu instid0(VALU_DEP_1) | instskip(SKIP_1) | instid1(VALU_DEP_2)
	v_cndmask_b32_e64 v98, 0, v98, s18
	v_cmp_lt_u32_e64 s18, 1, v97
	v_add_nc_u32_e32 v96, v98, v96
	s_delay_alu instid0(VALU_DEP_1) | instskip(NEXT) | instid1(VALU_DEP_1)
	v_mov_b32_dpp v98, v96 row_shr:2 row_mask:0xf bank_mask:0xf
	v_cndmask_b32_e64 v98, 0, v98, s18
	v_cmp_lt_u32_e64 s18, 3, v97
	s_delay_alu instid0(VALU_DEP_2) | instskip(NEXT) | instid1(VALU_DEP_1)
	v_add_nc_u32_e32 v96, v96, v98
	v_mov_b32_dpp v98, v96 row_shr:4 row_mask:0xf bank_mask:0xf
	s_delay_alu instid0(VALU_DEP_1) | instskip(NEXT) | instid1(VALU_DEP_1)
	v_cndmask_b32_e64 v97, 0, v98, s18
	v_add_nc_u32_e32 v96, v96, v97
	ds_store_b32 v95, v96
.LBB24_69:
	s_or_b32 exec_lo, exec_lo, s19
	v_mov_b32_e32 v95, 0
	s_mov_b32 s19, exec_lo
	s_waitcnt lgkmcnt(0)
	s_barrier
	buffer_gl0_inv
	v_cmpx_lt_u32_e32 31, v1
	s_cbranch_execz .LBB24_71
; %bb.70:
	v_lshl_add_u32 v94, v94, 2, -4
	ds_load_b32 v95, v94
.LBB24_71:
	s_or_b32 exec_lo, exec_lo, s19
	v_add_nc_u32_e32 v94, -1, v42
	s_waitcnt lgkmcnt(0)
	v_add_nc_u32_e32 v93, v95, v93
	s_mov_b32 s19, 0
	s_mov_b32 s20, exec_lo
	v_cmp_gt_i32_e64 s18, 0, v94
	s_delay_alu instid0(VALU_DEP_1) | instskip(SKIP_1) | instid1(VALU_DEP_2)
	v_cndmask_b32_e64 v94, v94, v42, s18
	v_cmp_eq_u32_e64 s18, 0, v42
	v_lshlrev_b32_e32 v94, 2, v94
	ds_bpermute_b32 v93, v94, v93
	s_waitcnt lgkmcnt(0)
	v_cndmask_b32_e64 v93, v93, v95, s18
	v_cmp_ne_u32_e64 s18, 0, v1
	s_delay_alu instid0(VALU_DEP_1) | instskip(NEXT) | instid1(VALU_DEP_1)
	v_cndmask_b32_e64 v93, 0, v93, s18
	v_add_nc_u32_e32 v40, v93, v40
	s_delay_alu instid0(VALU_DEP_1) | instskip(NEXT) | instid1(VALU_DEP_1)
	v_add_nc_u32_e32 v41, v40, v41
	v_add_nc_u32_e32 v38, v41, v38
	s_delay_alu instid0(VALU_DEP_1) | instskip(NEXT) | instid1(VALU_DEP_1)
	v_add_nc_u32_e32 v39, v38, v39
	;; [unrolled: 3-line block ×3, first 2 shown]
	v_add_nc_u32_e32 v2, v37, v2
	s_delay_alu instid0(VALU_DEP_1)
	v_add_nc_u32_e32 v3, v2, v3
	ds_store_2addr_b32 v45, v93, v40 offset0:8 offset1:9
	ds_store_2addr_b32 v92, v41, v38 offset0:2 offset1:3
	;; [unrolled: 1-line block ×4, first 2 shown]
	ds_store_b32 v92, v3 offset:32
	v_mov_b32_e32 v2, 0x1000
	s_waitcnt lgkmcnt(0)
	s_barrier
	buffer_gl0_inv
	ds_load_b32 v37, v49 offset:32
	ds_load_b32 v38, v52 offset:32
	;; [unrolled: 1-line block ×17, first 2 shown]
	v_add_nc_u32_e32 v45, 1, v1
	s_delay_alu instid0(VALU_DEP_1)
	v_cmpx_ne_u32_e32 0x100, v45
	s_cbranch_execz .LBB24_73
; %bb.72:
	v_mul_u32_u24_e32 v2, 9, v45
	s_delay_alu instid0(VALU_DEP_1)
	v_lshlrev_b32_e32 v2, 2, v2
	ds_load_b32 v2, v2 offset:32
.LBB24_73:
	s_or_b32 exec_lo, exec_lo, s20
	s_waitcnt lgkmcnt(1)
	v_add_nc_u32_e32 v36, v36, v44
	v_add3_u32 v37, v48, v47, v37
	v_add3_u32 v38, v51, v50, v38
	;; [unrolled: 1-line block ×4, first 2 shown]
	v_lshlrev_b32_e32 v54, 3, v36
	v_lshlrev_b32_e32 v55, 3, v37
	v_add3_u32 v40, v57, v56, v40
	v_add3_u32 v41, v60, v59, v41
	v_add3_u32 v44, v63, v62, v49
	v_add3_u32 v45, v66, v65, v52
	s_waitcnt lgkmcnt(0)
	s_barrier
	buffer_gl0_inv
	ds_store_b64 v54, v[4:5] offset:2048
	ds_store_b64 v55, v[6:7] offset:2048
	v_lshlrev_b32_e32 v4, 3, v38
	v_lshlrev_b32_e32 v5, 3, v39
	v_add3_u32 v47, v72, v71, v58
	v_lshlrev_b32_e32 v6, 3, v40
	v_add3_u32 v48, v75, v74, v61
	;; [unrolled: 2-line block ×4, first 2 shown]
	ds_store_b64 v4, v[8:9] offset:2048
	ds_store_b64 v5, v[10:11] offset:2048
	;; [unrolled: 1-line block ×5, first 2 shown]
	v_lshlrev_b32_e32 v4, 3, v45
	v_add3_u32 v51, v84, v83, v70
	v_lshlrev_b32_e32 v5, 3, v46
	v_lshlrev_b32_e32 v6, 3, v47
	;; [unrolled: 1-line block ×4, first 2 shown]
	ds_store_b64 v4, v[18:19] offset:2048
	ds_store_b64 v5, v[20:21] offset:2048
	;; [unrolled: 1-line block ×5, first 2 shown]
	v_lshlrev_b32_e32 v6, 3, v50
	v_lshl_add_u32 v4, s15, 8, v1
	v_mov_b32_e32 v5, 0
	v_lshlrev_b32_e32 v7, 3, v51
	ds_store_b64 v6, v[28:29] offset:2048
	ds_store_b64 v7, v[30:31] offset:2048
	v_lshlrev_b64 v[6:7], 2, v[4:5]
	v_add3_u32 v52, v87, v86, v73
	v_sub_nc_u32_e32 v10, v2, v3
	v_mov_b32_e32 v2, 0
	v_add3_u32 v53, v90, v89, v76
	s_mov_b32 s20, s54
	v_add_co_u32 v6, s18, s52, v6
	v_lshlrev_b32_e32 v8, 3, v52
	v_add_co_ci_u32_e64 v7, s18, s53, v7, s18
	v_or_b32_e32 v4, 2.0, v10
	v_lshlrev_b32_e32 v9, 3, v53
	ds_store_b64 v8, v[32:33] offset:2048
	ds_store_b64 v9, v[34:35] offset:2048
	s_waitcnt lgkmcnt(0)
	s_barrier
	buffer_gl0_inv
	global_store_b32 v[6:7], v4, off
                                        ; implicit-def: $sgpr18
	s_branch .LBB24_75
	.p2align	6
.LBB24_74:                              ;   in Loop: Header=BB24_75 Depth=1
	s_or_b32 exec_lo, exec_lo, s21
	v_and_b32_e32 v8, 0x3fffffff, v11
	v_cmp_eq_u32_e64 s18, 0x80000000, v4
	s_delay_alu instid0(VALU_DEP_2) | instskip(NEXT) | instid1(VALU_DEP_2)
	v_add_nc_u32_e32 v2, v8, v2
	s_and_b32 s21, exec_lo, s18
	s_delay_alu instid0(SALU_CYCLE_1) | instskip(NEXT) | instid1(SALU_CYCLE_1)
	s_or_b32 s19, s21, s19
	s_and_not1_b32 exec_lo, exec_lo, s19
	s_cbranch_execz .LBB24_81
.LBB24_75:                              ; =>This Loop Header: Depth=1
                                        ;     Child Loop BB24_78 Depth 2
	s_or_b32 s18, s18, exec_lo
	s_cmp_eq_u32 s20, 0
	s_cbranch_scc1 .LBB24_80
; %bb.76:                               ;   in Loop: Header=BB24_75 Depth=1
	s_add_i32 s20, s20, -1
	s_mov_b32 s21, exec_lo
	v_lshl_add_u32 v4, s20, 8, v1
	s_delay_alu instid0(VALU_DEP_1) | instskip(NEXT) | instid1(VALU_DEP_1)
	v_lshlrev_b64 v[8:9], 2, v[4:5]
	v_add_co_u32 v8, s18, s52, v8
	s_delay_alu instid0(VALU_DEP_1) | instskip(SKIP_3) | instid1(VALU_DEP_1)
	v_add_co_ci_u32_e64 v9, s18, s53, v9, s18
	global_load_b32 v11, v[8:9], off glc
	s_waitcnt vmcnt(0)
	v_and_b32_e32 v4, -2.0, v11
	v_cmpx_eq_u32_e32 0, v4
	s_cbranch_execz .LBB24_74
; %bb.77:                               ;   in Loop: Header=BB24_75 Depth=1
	s_mov_b32 s22, 0
.LBB24_78:                              ;   Parent Loop BB24_75 Depth=1
                                        ; =>  This Inner Loop Header: Depth=2
	global_load_b32 v11, v[8:9], off glc
	s_waitcnt vmcnt(0)
	v_and_b32_e32 v4, -2.0, v11
	s_delay_alu instid0(VALU_DEP_1) | instskip(NEXT) | instid1(VALU_DEP_1)
	v_cmp_ne_u32_e64 s18, 0, v4
	s_or_b32 s22, s18, s22
	s_delay_alu instid0(SALU_CYCLE_1)
	s_and_not1_b32 exec_lo, exec_lo, s22
	s_cbranch_execnz .LBB24_78
; %bb.79:                               ;   in Loop: Header=BB24_75 Depth=1
	s_or_b32 exec_lo, exec_lo, s22
	s_branch .LBB24_74
.LBB24_80:                              ;   in Loop: Header=BB24_75 Depth=1
                                        ; implicit-def: $sgpr20
	s_and_b32 s21, exec_lo, s18
	s_delay_alu instid0(SALU_CYCLE_1) | instskip(NEXT) | instid1(SALU_CYCLE_1)
	s_or_b32 s19, s21, s19
	s_and_not1_b32 exec_lo, exec_lo, s19
	s_cbranch_execnz .LBB24_75
.LBB24_81:
	s_or_b32 exec_lo, exec_lo, s19
	v_add_nc_u32_e32 v4, v2, v10
	v_lshlrev_b32_e32 v8, 3, v1
	s_delay_alu instid0(VALU_DEP_2) | instskip(SKIP_3) | instid1(VALU_DEP_1)
	v_or_b32_e32 v4, 0x80000000, v4
	global_store_b32 v[6:7], v4, off
	global_load_b64 v[4:5], v8, s[44:45]
	v_sub_co_u32 v6, s18, v2, v3
	v_sub_co_ci_u32_e64 v7, null, 0, 0, s18
	v_mov_b32_e32 v2, 0
	s_waitcnt vmcnt(0)
	s_delay_alu instid0(VALU_DEP_3) | instskip(NEXT) | instid1(VALU_DEP_1)
	v_add_co_u32 v6, s18, v6, v4
	v_add_co_ci_u32_e64 v7, s18, v7, v5, s18
	v_cmp_gt_u32_e64 s18, s35, v1
	v_mov_b32_e32 v4, v2
	ds_store_b64 v8, v[6:7]
	s_waitcnt lgkmcnt(0)
	s_waitcnt_vscnt null, 0x0
	s_barrier
	buffer_gl0_inv
	s_and_saveexec_b32 s20, s18
	s_cbranch_execz .LBB24_83
; %bb.82:
	ds_load_b64 v[5:6], v8 offset:2048
	s_waitcnt lgkmcnt(0)
	v_lshrrev_b64 v[11:12], s48, v[5:6]
	v_xor_b32_e32 v6, 0x80000000, v6
	s_delay_alu instid0(VALU_DEP_2) | instskip(NEXT) | instid1(VALU_DEP_1)
	v_and_b32_e32 v7, s55, v11
	v_lshlrev_b32_e32 v7, 3, v7
	ds_load_b64 v[11:12], v7
	s_waitcnt lgkmcnt(0)
	v_lshlrev_b64 v[11:12], 3, v[11:12]
	s_delay_alu instid0(VALU_DEP_1) | instskip(NEXT) | instid1(VALU_DEP_1)
	v_add_co_u32 v7, s19, s38, v11
	v_add_co_ci_u32_e64 v9, s19, s39, v12, s19
	s_delay_alu instid0(VALU_DEP_2) | instskip(NEXT) | instid1(VALU_DEP_1)
	v_add_co_u32 v11, s19, v7, v8
	v_add_co_ci_u32_e64 v12, s19, 0, v9, s19
	global_store_b64 v[11:12], v[5:6], off
.LBB24_83:
	s_or_b32 exec_lo, exec_lo, s20
	v_add_nc_u32_e32 v5, 0x100, v1
	s_delay_alu instid0(VALU_DEP_1) | instskip(NEXT) | instid1(VALU_DEP_1)
	v_cmp_gt_u32_e64 s19, s35, v5
	s_and_saveexec_b32 s21, s19
	s_cbranch_execz .LBB24_85
; %bb.84:
	v_lshlrev_b32_e32 v7, 3, v1
	ds_load_b64 v[5:6], v7 offset:4096
	s_waitcnt lgkmcnt(0)
	v_lshrrev_b64 v[11:12], s48, v[5:6]
	v_xor_b32_e32 v6, 0x80000000, v6
	s_delay_alu instid0(VALU_DEP_2) | instskip(NEXT) | instid1(VALU_DEP_1)
	v_and_b32_e32 v9, s55, v11
	v_lshlrev_b32_e32 v9, 3, v9
	ds_load_b64 v[11:12], v9
	s_waitcnt lgkmcnt(0)
	v_lshlrev_b64 v[11:12], 3, v[11:12]
	s_delay_alu instid0(VALU_DEP_1) | instskip(NEXT) | instid1(VALU_DEP_1)
	v_add_co_u32 v9, s20, s38, v11
	v_add_co_ci_u32_e64 v12, s20, s39, v12, s20
	s_delay_alu instid0(VALU_DEP_2) | instskip(NEXT) | instid1(VALU_DEP_1)
	v_add_co_u32 v11, s20, v9, v7
	v_add_co_ci_u32_e64 v12, s20, 0, v12, s20
	global_store_b64 v[11:12], v[5:6], off offset:2048
.LBB24_85:
	s_or_b32 exec_lo, exec_lo, s21
	v_add_nc_u32_e32 v5, 0x200, v1
	s_delay_alu instid0(VALU_DEP_1) | instskip(NEXT) | instid1(VALU_DEP_1)
	v_cmp_gt_u32_e64 s20, s35, v5
	s_and_saveexec_b32 s22, s20
	s_cbranch_execz .LBB24_87
; %bb.86:
	v_lshlrev_b32_e32 v6, 3, v1
	v_lshlrev_b32_e32 v5, 3, v5
	ds_load_b64 v[6:7], v6 offset:6144
	s_waitcnt lgkmcnt(0)
	v_lshrrev_b64 v[11:12], s48, v[6:7]
	v_xor_b32_e32 v7, 0x80000000, v7
	s_delay_alu instid0(VALU_DEP_2) | instskip(NEXT) | instid1(VALU_DEP_1)
	v_and_b32_e32 v9, s55, v11
	v_lshlrev_b32_e32 v9, 3, v9
	ds_load_b64 v[11:12], v9
	s_waitcnt lgkmcnt(0)
	v_lshlrev_b64 v[11:12], 3, v[11:12]
	s_delay_alu instid0(VALU_DEP_1) | instskip(NEXT) | instid1(VALU_DEP_1)
	v_add_co_u32 v9, s21, s38, v11
	v_add_co_ci_u32_e64 v12, s21, s39, v12, s21
	s_delay_alu instid0(VALU_DEP_2) | instskip(NEXT) | instid1(VALU_DEP_1)
	v_add_co_u32 v11, s21, v9, v5
	v_add_co_ci_u32_e64 v12, s21, 0, v12, s21
	global_store_b64 v[11:12], v[6:7], off
.LBB24_87:
	s_or_b32 exec_lo, exec_lo, s22
	v_add_nc_u32_e32 v5, 0x300, v1
	s_delay_alu instid0(VALU_DEP_1) | instskip(NEXT) | instid1(VALU_DEP_1)
	v_cmp_gt_u32_e64 s21, s35, v5
	s_and_saveexec_b32 s23, s21
	s_cbranch_execz .LBB24_89
; %bb.88:
	v_lshlrev_b32_e32 v6, 3, v1
	v_lshlrev_b32_e32 v5, 3, v5
	ds_load_b64 v[6:7], v6 offset:8192
	s_waitcnt lgkmcnt(0)
	v_lshrrev_b64 v[11:12], s48, v[6:7]
	v_xor_b32_e32 v7, 0x80000000, v7
	s_delay_alu instid0(VALU_DEP_2) | instskip(NEXT) | instid1(VALU_DEP_1)
	v_and_b32_e32 v9, s55, v11
	v_lshlrev_b32_e32 v9, 3, v9
	ds_load_b64 v[11:12], v9
	s_waitcnt lgkmcnt(0)
	v_lshlrev_b64 v[11:12], 3, v[11:12]
	s_delay_alu instid0(VALU_DEP_1) | instskip(NEXT) | instid1(VALU_DEP_1)
	v_add_co_u32 v9, s22, s38, v11
	v_add_co_ci_u32_e64 v12, s22, s39, v12, s22
	s_delay_alu instid0(VALU_DEP_2) | instskip(NEXT) | instid1(VALU_DEP_1)
	v_add_co_u32 v11, s22, v9, v5
	v_add_co_ci_u32_e64 v12, s22, 0, v12, s22
	global_store_b64 v[11:12], v[6:7], off
.LBB24_89:
	s_or_b32 exec_lo, exec_lo, s23
	v_or_b32_e32 v5, 0x400, v1
	s_delay_alu instid0(VALU_DEP_1) | instskip(NEXT) | instid1(VALU_DEP_1)
	v_cmp_gt_u32_e64 s22, s35, v5
	s_and_saveexec_b32 s24, s22
	s_cbranch_execz .LBB24_91
; %bb.90:
	v_lshlrev_b32_e32 v6, 3, v1
	v_lshlrev_b32_e32 v5, 3, v5
	ds_load_b64 v[6:7], v6 offset:10240
	s_waitcnt lgkmcnt(0)
	v_lshrrev_b64 v[11:12], s48, v[6:7]
	v_xor_b32_e32 v7, 0x80000000, v7
	s_delay_alu instid0(VALU_DEP_2) | instskip(NEXT) | instid1(VALU_DEP_1)
	v_and_b32_e32 v9, s55, v11
	v_lshlrev_b32_e32 v9, 3, v9
	ds_load_b64 v[11:12], v9
	s_waitcnt lgkmcnt(0)
	v_lshlrev_b64 v[11:12], 3, v[11:12]
	s_delay_alu instid0(VALU_DEP_1) | instskip(NEXT) | instid1(VALU_DEP_1)
	v_add_co_u32 v9, s23, s38, v11
	v_add_co_ci_u32_e64 v12, s23, s39, v12, s23
	s_delay_alu instid0(VALU_DEP_2) | instskip(NEXT) | instid1(VALU_DEP_1)
	v_add_co_u32 v11, s23, v9, v5
	v_add_co_ci_u32_e64 v12, s23, 0, v12, s23
	global_store_b64 v[11:12], v[6:7], off
.LBB24_91:
	s_or_b32 exec_lo, exec_lo, s24
	v_add_nc_u32_e32 v5, 0x500, v1
	s_delay_alu instid0(VALU_DEP_1) | instskip(NEXT) | instid1(VALU_DEP_1)
	v_cmp_gt_u32_e64 s23, s35, v5
	s_and_saveexec_b32 s25, s23
	s_cbranch_execz .LBB24_93
; %bb.92:
	v_lshlrev_b32_e32 v6, 3, v1
	v_lshlrev_b32_e32 v5, 3, v5
	ds_load_b64 v[6:7], v6 offset:12288
	s_waitcnt lgkmcnt(0)
	v_lshrrev_b64 v[11:12], s48, v[6:7]
	v_xor_b32_e32 v7, 0x80000000, v7
	s_delay_alu instid0(VALU_DEP_2) | instskip(NEXT) | instid1(VALU_DEP_1)
	v_and_b32_e32 v9, s55, v11
	v_lshlrev_b32_e32 v9, 3, v9
	ds_load_b64 v[11:12], v9
	s_waitcnt lgkmcnt(0)
	v_lshlrev_b64 v[11:12], 3, v[11:12]
	s_delay_alu instid0(VALU_DEP_1) | instskip(NEXT) | instid1(VALU_DEP_1)
	v_add_co_u32 v9, s24, s38, v11
	v_add_co_ci_u32_e64 v12, s24, s39, v12, s24
	s_delay_alu instid0(VALU_DEP_2) | instskip(NEXT) | instid1(VALU_DEP_1)
	v_add_co_u32 v11, s24, v9, v5
	v_add_co_ci_u32_e64 v12, s24, 0, v12, s24
	global_store_b64 v[11:12], v[6:7], off
.LBB24_93:
	s_or_b32 exec_lo, exec_lo, s25
	v_add_nc_u32_e32 v5, 0x600, v1
	;; [unrolled: 27-line block ×3, first 2 shown]
	s_delay_alu instid0(VALU_DEP_1) | instskip(NEXT) | instid1(VALU_DEP_1)
	v_cmp_gt_u32_e64 s25, s35, v5
	s_and_saveexec_b32 s27, s25
	s_cbranch_execz .LBB24_97
; %bb.96:
	v_lshlrev_b32_e32 v6, 3, v1
	v_lshlrev_b32_e32 v5, 3, v5
	ds_load_b64 v[6:7], v6 offset:16384
	s_waitcnt lgkmcnt(0)
	v_lshrrev_b64 v[11:12], s48, v[6:7]
	v_xor_b32_e32 v7, 0x80000000, v7
	s_delay_alu instid0(VALU_DEP_2) | instskip(NEXT) | instid1(VALU_DEP_1)
	v_and_b32_e32 v9, s55, v11
	v_lshlrev_b32_e32 v9, 3, v9
	ds_load_b64 v[11:12], v9
	s_waitcnt lgkmcnt(0)
	v_lshlrev_b64 v[11:12], 3, v[11:12]
	s_delay_alu instid0(VALU_DEP_1) | instskip(NEXT) | instid1(VALU_DEP_1)
	v_add_co_u32 v9, s26, s38, v11
	v_add_co_ci_u32_e64 v12, s26, s39, v12, s26
	s_delay_alu instid0(VALU_DEP_2) | instskip(NEXT) | instid1(VALU_DEP_1)
	v_add_co_u32 v11, s26, v9, v5
	v_add_co_ci_u32_e64 v12, s26, 0, v12, s26
	global_store_b64 v[11:12], v[6:7], off
.LBB24_97:
	s_or_b32 exec_lo, exec_lo, s27
	v_or_b32_e32 v5, 0x800, v1
	s_delay_alu instid0(VALU_DEP_1) | instskip(NEXT) | instid1(VALU_DEP_1)
	v_cmp_gt_u32_e64 s26, s35, v5
	s_and_saveexec_b32 s28, s26
	s_cbranch_execz .LBB24_99
; %bb.98:
	v_lshlrev_b32_e32 v6, 3, v1
	v_lshlrev_b32_e32 v5, 3, v5
	ds_load_b64 v[6:7], v6 offset:18432
	s_waitcnt lgkmcnt(0)
	v_lshrrev_b64 v[11:12], s48, v[6:7]
	v_xor_b32_e32 v7, 0x80000000, v7
	s_delay_alu instid0(VALU_DEP_2) | instskip(NEXT) | instid1(VALU_DEP_1)
	v_and_b32_e32 v9, s55, v11
	v_lshlrev_b32_e32 v9, 3, v9
	ds_load_b64 v[11:12], v9
	s_waitcnt lgkmcnt(0)
	v_lshlrev_b64 v[11:12], 3, v[11:12]
	s_delay_alu instid0(VALU_DEP_1) | instskip(NEXT) | instid1(VALU_DEP_1)
	v_add_co_u32 v9, s27, s38, v11
	v_add_co_ci_u32_e64 v12, s27, s39, v12, s27
	s_delay_alu instid0(VALU_DEP_2) | instskip(NEXT) | instid1(VALU_DEP_1)
	v_add_co_u32 v11, s27, v9, v5
	v_add_co_ci_u32_e64 v12, s27, 0, v12, s27
	global_store_b64 v[11:12], v[6:7], off
.LBB24_99:
	s_or_b32 exec_lo, exec_lo, s28
	v_add_nc_u32_e32 v5, 0x900, v1
	s_delay_alu instid0(VALU_DEP_1) | instskip(NEXT) | instid1(VALU_DEP_1)
	v_cmp_gt_u32_e64 s27, s35, v5
	s_and_saveexec_b32 s29, s27
	s_cbranch_execz .LBB24_101
; %bb.100:
	v_lshlrev_b32_e32 v6, 3, v1
	v_lshlrev_b32_e32 v5, 3, v5
	ds_load_b64 v[6:7], v6 offset:20480
	s_waitcnt lgkmcnt(0)
	v_lshrrev_b64 v[11:12], s48, v[6:7]
	v_xor_b32_e32 v7, 0x80000000, v7
	s_delay_alu instid0(VALU_DEP_2) | instskip(NEXT) | instid1(VALU_DEP_1)
	v_and_b32_e32 v9, s55, v11
	v_lshlrev_b32_e32 v9, 3, v9
	ds_load_b64 v[11:12], v9
	s_waitcnt lgkmcnt(0)
	v_lshlrev_b64 v[11:12], 3, v[11:12]
	s_delay_alu instid0(VALU_DEP_1) | instskip(NEXT) | instid1(VALU_DEP_1)
	v_add_co_u32 v9, s28, s38, v11
	v_add_co_ci_u32_e64 v12, s28, s39, v12, s28
	s_delay_alu instid0(VALU_DEP_2) | instskip(NEXT) | instid1(VALU_DEP_1)
	v_add_co_u32 v11, s28, v9, v5
	v_add_co_ci_u32_e64 v12, s28, 0, v12, s28
	global_store_b64 v[11:12], v[6:7], off
.LBB24_101:
	s_or_b32 exec_lo, exec_lo, s29
	v_add_nc_u32_e32 v5, 0xa00, v1
	;; [unrolled: 27-line block ×3, first 2 shown]
	s_delay_alu instid0(VALU_DEP_1) | instskip(NEXT) | instid1(VALU_DEP_1)
	v_cmp_gt_u32_e64 s29, s35, v5
	s_and_saveexec_b32 s31, s29
	s_cbranch_execz .LBB24_105
; %bb.104:
	v_lshlrev_b32_e32 v6, 3, v1
	v_lshlrev_b32_e32 v5, 3, v5
	ds_load_b64 v[6:7], v6 offset:24576
	s_waitcnt lgkmcnt(0)
	v_lshrrev_b64 v[11:12], s48, v[6:7]
	v_xor_b32_e32 v7, 0x80000000, v7
	s_delay_alu instid0(VALU_DEP_2) | instskip(NEXT) | instid1(VALU_DEP_1)
	v_and_b32_e32 v9, s55, v11
	v_lshlrev_b32_e32 v9, 3, v9
	ds_load_b64 v[11:12], v9
	s_waitcnt lgkmcnt(0)
	v_lshlrev_b64 v[11:12], 3, v[11:12]
	s_delay_alu instid0(VALU_DEP_1) | instskip(NEXT) | instid1(VALU_DEP_1)
	v_add_co_u32 v9, s30, s38, v11
	v_add_co_ci_u32_e64 v12, s30, s39, v12, s30
	s_delay_alu instid0(VALU_DEP_2) | instskip(NEXT) | instid1(VALU_DEP_1)
	v_add_co_u32 v11, s30, v9, v5
	v_add_co_ci_u32_e64 v12, s30, 0, v12, s30
	global_store_b64 v[11:12], v[6:7], off
.LBB24_105:
	s_or_b32 exec_lo, exec_lo, s31
	v_or_b32_e32 v5, 0xc00, v1
	s_delay_alu instid0(VALU_DEP_1) | instskip(NEXT) | instid1(VALU_DEP_1)
	v_cmp_gt_u32_e64 s30, s35, v5
	s_and_saveexec_b32 s33, s30
	s_cbranch_execz .LBB24_107
; %bb.106:
	v_lshlrev_b32_e32 v6, 3, v1
	v_lshlrev_b32_e32 v5, 3, v5
	ds_load_b64 v[6:7], v6 offset:26624
	s_waitcnt lgkmcnt(0)
	v_lshrrev_b64 v[11:12], s48, v[6:7]
	v_xor_b32_e32 v7, 0x80000000, v7
	s_delay_alu instid0(VALU_DEP_2) | instskip(NEXT) | instid1(VALU_DEP_1)
	v_and_b32_e32 v9, s55, v11
	v_lshlrev_b32_e32 v9, 3, v9
	ds_load_b64 v[11:12], v9
	s_waitcnt lgkmcnt(0)
	v_lshlrev_b64 v[11:12], 3, v[11:12]
	s_delay_alu instid0(VALU_DEP_1) | instskip(NEXT) | instid1(VALU_DEP_1)
	v_add_co_u32 v9, s31, s38, v11
	v_add_co_ci_u32_e64 v12, s31, s39, v12, s31
	s_delay_alu instid0(VALU_DEP_2) | instskip(NEXT) | instid1(VALU_DEP_1)
	v_add_co_u32 v11, s31, v9, v5
	v_add_co_ci_u32_e64 v12, s31, 0, v12, s31
	global_store_b64 v[11:12], v[6:7], off
.LBB24_107:
	s_or_b32 exec_lo, exec_lo, s33
	v_add_nc_u32_e32 v5, 0xd00, v1
	s_delay_alu instid0(VALU_DEP_1) | instskip(NEXT) | instid1(VALU_DEP_1)
	v_cmp_gt_u32_e64 s31, s35, v5
	s_and_saveexec_b32 s34, s31
	s_cbranch_execz .LBB24_109
; %bb.108:
	v_lshlrev_b32_e32 v6, 3, v1
	v_lshlrev_b32_e32 v5, 3, v5
	ds_load_b64 v[6:7], v6 offset:28672
	s_waitcnt lgkmcnt(0)
	v_lshrrev_b64 v[11:12], s48, v[6:7]
	v_xor_b32_e32 v7, 0x80000000, v7
	s_delay_alu instid0(VALU_DEP_2) | instskip(NEXT) | instid1(VALU_DEP_1)
	v_and_b32_e32 v9, s55, v11
	v_lshlrev_b32_e32 v9, 3, v9
	ds_load_b64 v[11:12], v9
	s_waitcnt lgkmcnt(0)
	v_lshlrev_b64 v[11:12], 3, v[11:12]
	s_delay_alu instid0(VALU_DEP_1) | instskip(NEXT) | instid1(VALU_DEP_1)
	v_add_co_u32 v9, s33, s38, v11
	v_add_co_ci_u32_e64 v12, s33, s39, v12, s33
	s_delay_alu instid0(VALU_DEP_2) | instskip(NEXT) | instid1(VALU_DEP_1)
	v_add_co_u32 v11, s33, v9, v5
	v_add_co_ci_u32_e64 v12, s33, 0, v12, s33
	global_store_b64 v[11:12], v[6:7], off
.LBB24_109:
	s_or_b32 exec_lo, exec_lo, s34
	v_add_nc_u32_e32 v5, 0xe00, v1
	;; [unrolled: 27-line block ×3, first 2 shown]
	s_delay_alu instid0(VALU_DEP_1) | instskip(NEXT) | instid1(VALU_DEP_1)
	v_cmp_gt_u32_e64 s34, s35, v5
	s_and_saveexec_b32 s56, s34
	s_cbranch_execz .LBB24_113
; %bb.112:
	v_lshlrev_b32_e32 v6, 3, v1
	v_lshlrev_b32_e32 v5, 3, v5
	ds_load_b64 v[6:7], v6 offset:32768
	s_waitcnt lgkmcnt(0)
	v_lshrrev_b64 v[11:12], s48, v[6:7]
	v_xor_b32_e32 v7, 0x80000000, v7
	s_delay_alu instid0(VALU_DEP_2) | instskip(NEXT) | instid1(VALU_DEP_1)
	v_and_b32_e32 v9, s55, v11
	v_lshlrev_b32_e32 v9, 3, v9
	ds_load_b64 v[11:12], v9
	s_waitcnt lgkmcnt(0)
	v_lshlrev_b64 v[11:12], 3, v[11:12]
	s_delay_alu instid0(VALU_DEP_1) | instskip(NEXT) | instid1(VALU_DEP_1)
	v_add_co_u32 v9, s35, s38, v11
	v_add_co_ci_u32_e64 v12, s35, s39, v12, s35
	s_delay_alu instid0(VALU_DEP_2) | instskip(NEXT) | instid1(VALU_DEP_1)
	v_add_co_u32 v11, s35, v9, v5
	v_add_co_ci_u32_e64 v12, s35, 0, v12, s35
	global_store_b64 v[11:12], v[6:7], off
.LBB24_113:
	s_or_b32 exec_lo, exec_lo, s56
	s_add_u32 s35, s40, s50
	s_addc_u32 s50, s41, 0
	v_add_co_u32 v5, s35, s35, v42
	s_delay_alu instid0(VALU_DEP_1) | instskip(NEXT) | instid1(VALU_DEP_2)
	v_add_co_ci_u32_e64 v6, null, s50, 0, s35
                                        ; implicit-def: $vgpr7
	v_add_co_u32 v5, s35, v5, v43
	s_delay_alu instid0(VALU_DEP_1) | instskip(SKIP_1) | instid1(SALU_CYCLE_1)
	v_add_co_ci_u32_e64 v6, s35, 0, v6, s35
	s_and_saveexec_b32 s35, vcc_lo
	s_xor_b32 s35, exec_lo, s35
	s_cbranch_execnz .LBB24_217
; %bb.114:
	s_or_b32 exec_lo, exec_lo, s35
                                        ; implicit-def: $vgpr9
	s_and_saveexec_b32 s35, s2
	s_cbranch_execnz .LBB24_218
.LBB24_115:
	s_or_b32 exec_lo, exec_lo, s35
                                        ; implicit-def: $vgpr11
	s_and_saveexec_b32 s2, s3
	s_cbranch_execnz .LBB24_219
.LBB24_116:
	s_or_b32 exec_lo, exec_lo, s2
                                        ; implicit-def: $vgpr12
	s_and_saveexec_b32 s2, s4
	s_cbranch_execnz .LBB24_220
.LBB24_117:
	s_or_b32 exec_lo, exec_lo, s2
                                        ; implicit-def: $vgpr13
	s_and_saveexec_b32 s2, s5
	s_cbranch_execnz .LBB24_221
.LBB24_118:
	s_or_b32 exec_lo, exec_lo, s2
                                        ; implicit-def: $vgpr14
	s_and_saveexec_b32 s2, s6
	s_cbranch_execnz .LBB24_222
.LBB24_119:
	s_or_b32 exec_lo, exec_lo, s2
                                        ; implicit-def: $vgpr15
	s_and_saveexec_b32 s2, s7
	s_cbranch_execnz .LBB24_223
.LBB24_120:
	s_or_b32 exec_lo, exec_lo, s2
                                        ; implicit-def: $vgpr16
	s_and_saveexec_b32 s2, s8
	s_cbranch_execnz .LBB24_224
.LBB24_121:
	s_or_b32 exec_lo, exec_lo, s2
                                        ; implicit-def: $vgpr17
	s_and_saveexec_b32 s2, s9
	s_cbranch_execnz .LBB24_225
.LBB24_122:
	s_or_b32 exec_lo, exec_lo, s2
                                        ; implicit-def: $vgpr18
	s_and_saveexec_b32 s2, s10
	s_cbranch_execnz .LBB24_226
.LBB24_123:
	s_or_b32 exec_lo, exec_lo, s2
                                        ; implicit-def: $vgpr19
	s_and_saveexec_b32 s2, s11
	s_cbranch_execnz .LBB24_227
.LBB24_124:
	s_or_b32 exec_lo, exec_lo, s2
                                        ; implicit-def: $vgpr22
	s_and_saveexec_b32 s2, s12
	s_cbranch_execnz .LBB24_228
.LBB24_125:
	s_or_b32 exec_lo, exec_lo, s2
                                        ; implicit-def: $vgpr25
	s_and_saveexec_b32 s2, s13
	s_cbranch_execnz .LBB24_229
.LBB24_126:
	s_or_b32 exec_lo, exec_lo, s2
                                        ; implicit-def: $vgpr29
	s_and_saveexec_b32 s2, s14
	s_cbranch_execnz .LBB24_230
.LBB24_127:
	s_or_b32 exec_lo, exec_lo, s2
                                        ; implicit-def: $vgpr33
	s_and_saveexec_b32 s2, s16
	s_cbranch_execnz .LBB24_231
.LBB24_128:
	s_or_b32 exec_lo, exec_lo, s2
                                        ; implicit-def: $vgpr54
	s_and_saveexec_b32 s2, s17
	s_cbranch_execnz .LBB24_232
.LBB24_129:
	s_or_b32 exec_lo, exec_lo, s2
                                        ; implicit-def: $vgpr55
	s_and_saveexec_b32 s2, s18
	s_cbranch_execnz .LBB24_233
.LBB24_130:
	s_or_b32 exec_lo, exec_lo, s2
                                        ; implicit-def: $vgpr43
	s_and_saveexec_b32 s2, s19
	s_cbranch_execnz .LBB24_234
.LBB24_131:
	s_or_b32 exec_lo, exec_lo, s2
                                        ; implicit-def: $vgpr35
	s_and_saveexec_b32 s2, s20
	s_cbranch_execnz .LBB24_235
.LBB24_132:
	s_or_b32 exec_lo, exec_lo, s2
                                        ; implicit-def: $vgpr34
	s_and_saveexec_b32 s2, s21
	s_cbranch_execnz .LBB24_236
.LBB24_133:
	s_or_b32 exec_lo, exec_lo, s2
                                        ; implicit-def: $vgpr32
	s_and_saveexec_b32 s2, s22
	s_cbranch_execnz .LBB24_237
.LBB24_134:
	s_or_b32 exec_lo, exec_lo, s2
                                        ; implicit-def: $vgpr31
	s_and_saveexec_b32 s2, s23
	s_cbranch_execnz .LBB24_238
.LBB24_135:
	s_or_b32 exec_lo, exec_lo, s2
                                        ; implicit-def: $vgpr30
	s_and_saveexec_b32 s2, s24
	s_cbranch_execnz .LBB24_239
.LBB24_136:
	s_or_b32 exec_lo, exec_lo, s2
                                        ; implicit-def: $vgpr28
	s_and_saveexec_b32 s2, s25
	s_cbranch_execnz .LBB24_240
.LBB24_137:
	s_or_b32 exec_lo, exec_lo, s2
                                        ; implicit-def: $vgpr27
	s_and_saveexec_b32 s2, s26
	s_cbranch_execnz .LBB24_241
.LBB24_138:
	s_or_b32 exec_lo, exec_lo, s2
                                        ; implicit-def: $vgpr26
	s_and_saveexec_b32 s2, s27
	s_cbranch_execnz .LBB24_242
.LBB24_139:
	s_or_b32 exec_lo, exec_lo, s2
                                        ; implicit-def: $vgpr24
	s_and_saveexec_b32 s2, s28
	s_cbranch_execnz .LBB24_243
.LBB24_140:
	s_or_b32 exec_lo, exec_lo, s2
                                        ; implicit-def: $vgpr23
	s_and_saveexec_b32 s2, s29
	s_cbranch_execnz .LBB24_244
.LBB24_141:
	s_or_b32 exec_lo, exec_lo, s2
                                        ; implicit-def: $vgpr21
	s_and_saveexec_b32 s2, s30
	s_cbranch_execnz .LBB24_245
.LBB24_142:
	s_or_b32 exec_lo, exec_lo, s2
                                        ; implicit-def: $vgpr20
	s_and_saveexec_b32 s2, s31
	s_cbranch_execnz .LBB24_246
.LBB24_143:
	s_or_b32 exec_lo, exec_lo, s2
                                        ; implicit-def: $vgpr6
	s_and_saveexec_b32 s2, s33
	s_cbranch_execnz .LBB24_247
.LBB24_144:
	s_or_b32 exec_lo, exec_lo, s2
                                        ; implicit-def: $vgpr5
	s_and_saveexec_b32 s2, s34
	s_cbranch_execz .LBB24_146
.LBB24_145:
	v_lshlrev_b32_e32 v5, 3, v1
	ds_load_b64 v[56:57], v5 offset:32768
	s_waitcnt lgkmcnt(0)
	v_lshrrev_b64 v[56:57], s48, v[56:57]
	s_delay_alu instid0(VALU_DEP_1)
	v_and_b32_e32 v5, s55, v56
.LBB24_146:
	s_or_b32 exec_lo, exec_lo, s2
	s_waitcnt vmcnt(0)
	s_waitcnt_vscnt null, 0x0
	s_barrier
	buffer_gl0_inv
	ds_store_b8 v36, v7 offset:2048
	ds_store_b8 v37, v9 offset:2048
	;; [unrolled: 1-line block ×16, first 2 shown]
	s_waitcnt lgkmcnt(0)
	s_barrier
	buffer_gl0_inv
	s_and_saveexec_b32 s2, s18
	s_cbranch_execnz .LBB24_248
; %bb.147:
	s_or_b32 exec_lo, exec_lo, s2
	s_and_saveexec_b32 s2, s19
	s_cbranch_execnz .LBB24_249
.LBB24_148:
	s_or_b32 exec_lo, exec_lo, s2
	s_and_saveexec_b32 s2, s20
	s_cbranch_execnz .LBB24_250
.LBB24_149:
	s_or_b32 exec_lo, exec_lo, s2
	s_and_saveexec_b32 s2, s21
	s_cbranch_execnz .LBB24_251
.LBB24_150:
	s_or_b32 exec_lo, exec_lo, s2
	s_and_saveexec_b32 s2, s22
	s_cbranch_execnz .LBB24_252
.LBB24_151:
	s_or_b32 exec_lo, exec_lo, s2
	s_and_saveexec_b32 s2, s23
	s_cbranch_execnz .LBB24_253
.LBB24_152:
	s_or_b32 exec_lo, exec_lo, s2
	s_and_saveexec_b32 s2, s24
	s_cbranch_execnz .LBB24_254
.LBB24_153:
	s_or_b32 exec_lo, exec_lo, s2
	s_and_saveexec_b32 s2, s25
	s_cbranch_execnz .LBB24_255
.LBB24_154:
	s_or_b32 exec_lo, exec_lo, s2
	s_and_saveexec_b32 s2, s26
	s_cbranch_execnz .LBB24_256
.LBB24_155:
	s_or_b32 exec_lo, exec_lo, s2
	s_and_saveexec_b32 s2, s27
	s_cbranch_execnz .LBB24_257
.LBB24_156:
	s_or_b32 exec_lo, exec_lo, s2
	s_and_saveexec_b32 s2, s28
	s_cbranch_execnz .LBB24_258
.LBB24_157:
	s_or_b32 exec_lo, exec_lo, s2
	s_and_saveexec_b32 s2, s29
	s_cbranch_execnz .LBB24_259
.LBB24_158:
	s_or_b32 exec_lo, exec_lo, s2
	s_and_saveexec_b32 s2, s30
	s_cbranch_execnz .LBB24_260
.LBB24_159:
	s_or_b32 exec_lo, exec_lo, s2
	s_and_saveexec_b32 s2, s31
	s_cbranch_execnz .LBB24_261
.LBB24_160:
	s_or_b32 exec_lo, exec_lo, s2
	s_and_saveexec_b32 s2, s33
	s_cbranch_execnz .LBB24_262
.LBB24_161:
	s_or_b32 exec_lo, exec_lo, s2
	s_and_saveexec_b32 s2, s34
	s_cbranch_execz .LBB24_163
.LBB24_162:
	v_lshlrev_b32_e32 v5, 3, v5
	ds_load_b64 v[5:6], v5
	ds_load_u8 v7, v1 offset:5888
	s_waitcnt lgkmcnt(1)
	v_add_co_u32 v5, vcc_lo, s42, v5
	v_add_co_ci_u32_e32 v6, vcc_lo, s43, v6, vcc_lo
	s_delay_alu instid0(VALU_DEP_2) | instskip(NEXT) | instid1(VALU_DEP_2)
	v_add_co_u32 v5, vcc_lo, v5, v1
	v_add_co_ci_u32_e32 v6, vcc_lo, 0, v6, vcc_lo
	s_waitcnt lgkmcnt(0)
	global_store_b8 v[5:6], v7, off offset:3840
.LBB24_163:
	s_or_b32 exec_lo, exec_lo, s2
	s_add_i32 s51, s51, -1
	s_delay_alu instid0(SALU_CYCLE_1)
	s_cmp_eq_u32 s15, s51
	s_cselect_b32 s2, -1, 0
	s_branch .LBB24_214
.LBB24_164:
	s_mov_b32 s2, 0
                                        ; implicit-def: $vgpr8
                                        ; implicit-def: $vgpr3_vgpr4
                                        ; implicit-def: $vgpr10
	s_cbranch_execz .LBB24_214
; %bb.165:
	v_lshlrev_b32_e32 v2, 4, v1
	s_lshl_b32 s2, s15, 12
	s_mov_b32 s3, 0
	v_mov_b32_e32 v36, 0
	s_lshl_b64 s[4:5], s[2:3], 3
	v_and_b32_e32 v43, 0xe00, v2
	v_lshlrev_b32_e32 v2, 3, v42
	s_add_u32 s3, s36, s4
	s_addc_u32 s4, s37, s5
	s_delay_alu instid0(VALU_DEP_2) | instskip(NEXT) | instid1(VALU_DEP_2)
	v_lshlrev_b32_e32 v3, 3, v43
	v_add_co_u32 v2, s3, s3, v2
	s_delay_alu instid0(VALU_DEP_1) | instskip(NEXT) | instid1(VALU_DEP_2)
	v_add_co_ci_u32_e64 v4, null, s4, 0, s3
	v_add_co_u32 v2, vcc_lo, v2, v3
	s_delay_alu instid0(VALU_DEP_2)
	v_add_co_ci_u32_e32 v3, vcc_lo, 0, v4, vcc_lo
	global_load_b64 v[12:13], v[2:3], off
	s_clause 0x1
	s_load_b32 s4, s[0:1], 0x5c
	s_load_b32 s3, s[0:1], 0x50
	s_add_u32 s0, s0, 0x50
	s_addc_u32 s1, s1, 0
	s_waitcnt lgkmcnt(0)
	s_lshr_b32 s4, s4, 16
	s_cmp_lt_u32 s15, s3
	s_cselect_b32 s5, 12, 18
	s_delay_alu instid0(SALU_CYCLE_1)
	s_add_u32 s0, s0, s5
	s_addc_u32 s1, s1, 0
	global_load_u16 v37, v36, s[0:1]
	s_clause 0xe
	global_load_b64 v[34:35], v[2:3], off offset:256
	global_load_b64 v[32:33], v[2:3], off offset:512
	;; [unrolled: 1-line block ×15, first 2 shown]
	s_lshl_b32 s0, -1, s49
	s_delay_alu instid0(SALU_CYCLE_1) | instskip(SKIP_2) | instid1(VALU_DEP_1)
	s_not_b32 s1, s0
	s_waitcnt vmcnt(16)
	v_xor_b32_e32 v13, 0x80000000, v13
	v_lshrrev_b64 v[2:3], s48, v[12:13]
	s_delay_alu instid0(VALU_DEP_1) | instskip(SKIP_2) | instid1(VALU_DEP_3)
	v_and_b32_e32 v38, s1, v2
	v_bfe_u32 v2, v0, 10, 10
	v_bfe_u32 v0, v0, 20, 10
	v_and_b32_e32 v3, 1, v38
	v_lshlrev_b32_e32 v39, 30, v38
	v_lshlrev_b32_e32 v40, 29, v38
	;; [unrolled: 1-line block ×4, first 2 shown]
	v_add_co_u32 v3, s0, v3, -1
	s_delay_alu instid0(VALU_DEP_1)
	v_cndmask_b32_e64 v44, 0, 1, s0
	v_not_b32_e32 v48, v39
	v_cmp_gt_i32_e64 s0, 0, v39
	v_not_b32_e32 v39, v40
	v_lshlrev_b32_e32 v46, 26, v38
	v_cmp_ne_u32_e32 vcc_lo, 0, v44
	v_ashrrev_i32_e32 v48, 31, v48
	v_lshlrev_b32_e32 v47, 25, v38
	v_ashrrev_i32_e32 v39, 31, v39
	v_lshlrev_b32_e32 v44, 24, v38
	v_xor_b32_e32 v3, vcc_lo, v3
	v_cmp_gt_i32_e32 vcc_lo, 0, v40
	v_not_b32_e32 v40, v41
	v_xor_b32_e32 v48, s0, v48
	v_cmp_gt_i32_e64 s0, 0, v41
	v_and_b32_e32 v3, exec_lo, v3
	v_not_b32_e32 v41, v45
	v_ashrrev_i32_e32 v40, 31, v40
	v_xor_b32_e32 v39, vcc_lo, v39
	v_cmp_gt_i32_e32 vcc_lo, 0, v45
	v_and_b32_e32 v3, v3, v48
	v_not_b32_e32 v45, v46
	v_ashrrev_i32_e32 v41, 31, v41
	v_xor_b32_e32 v40, s0, v40
	v_cmp_gt_i32_e64 s0, 0, v46
	v_and_b32_e32 v3, v3, v39
	v_not_b32_e32 v39, v47
	v_ashrrev_i32_e32 v45, 31, v45
	v_xor_b32_e32 v41, vcc_lo, v41
	v_cmp_gt_i32_e32 vcc_lo, 0, v47
	v_and_b32_e32 v3, v3, v40
	v_not_b32_e32 v40, v44
	v_ashrrev_i32_e32 v39, 31, v39
	v_xor_b32_e32 v45, s0, v45
	v_cmp_gt_i32_e64 s0, 0, v44
	v_and_b32_e32 v3, v3, v41
	v_ashrrev_i32_e32 v40, 31, v40
	v_xor_b32_e32 v39, vcc_lo, v39
	v_mad_u32_u24 v0, v0, s4, v2
	v_mul_u32_u24_e32 v41, 9, v1
	v_and_b32_e32 v3, v3, v45
	v_xor_b32_e32 v40, s0, v40
	s_delay_alu instid0(VALU_DEP_3) | instskip(NEXT) | instid1(VALU_DEP_3)
	v_lshlrev_b32_e32 v44, 2, v41
	v_and_b32_e32 v39, v3, v39
	s_waitcnt vmcnt(15)
	v_mad_u64_u32 v[2:3], null, v0, v37, v[1:2]
	ds_store_2addr_b32 v44, v36, v36 offset0:8 offset1:9
	ds_store_2addr_b32 v44, v36, v36 offset0:10 offset1:11
	;; [unrolled: 1-line block ×4, first 2 shown]
	v_and_b32_e32 v3, v39, v40
	ds_store_b32 v44, v36 offset:64
	v_lshl_add_u32 v36, v38, 3, v38
	s_waitcnt vmcnt(0) lgkmcnt(0)
	s_waitcnt_vscnt null, 0x0
	v_lshrrev_b32_e32 v2, 5, v2
	v_mbcnt_lo_u32_b32 v0, v3, 0
	v_cmp_ne_u32_e64 s0, 0, v3
	s_barrier
	buffer_gl0_inv
	v_add_lshl_u32 v45, v2, v36, 2
	v_cmp_eq_u32_e32 vcc_lo, 0, v0
	; wave barrier
	s_and_b32 s4, s0, vcc_lo
	s_delay_alu instid0(SALU_CYCLE_1)
	s_and_saveexec_b32 s0, s4
	s_cbranch_execz .LBB24_167
; %bb.166:
	v_bcnt_u32_b32 v3, v3, 0
	ds_store_b32 v45, v3 offset:32
.LBB24_167:
	s_or_b32 exec_lo, exec_lo, s0
	v_xor_b32_e32 v35, 0x80000000, v35
	; wave barrier
	s_delay_alu instid0(VALU_DEP_1) | instskip(NEXT) | instid1(VALU_DEP_1)
	v_lshrrev_b64 v[36:37], s48, v[34:35]
	v_and_b32_e32 v3, s1, v36
	s_delay_alu instid0(VALU_DEP_1)
	v_and_b32_e32 v36, 1, v3
	v_lshlrev_b32_e32 v37, 30, v3
	v_lshlrev_b32_e32 v38, 29, v3
	;; [unrolled: 1-line block ×4, first 2 shown]
	v_add_co_u32 v36, s0, v36, -1
	s_delay_alu instid0(VALU_DEP_1)
	v_cndmask_b32_e64 v40, 0, 1, s0
	v_not_b32_e32 v48, v37
	v_cmp_gt_i32_e64 s0, 0, v37
	v_not_b32_e32 v37, v38
	v_lshlrev_b32_e32 v46, 26, v3
	v_cmp_ne_u32_e32 vcc_lo, 0, v40
	v_ashrrev_i32_e32 v48, 31, v48
	v_lshlrev_b32_e32 v47, 25, v3
	v_ashrrev_i32_e32 v37, 31, v37
	v_lshlrev_b32_e32 v40, 24, v3
	v_xor_b32_e32 v36, vcc_lo, v36
	v_cmp_gt_i32_e32 vcc_lo, 0, v38
	v_not_b32_e32 v38, v39
	v_xor_b32_e32 v48, s0, v48
	v_cmp_gt_i32_e64 s0, 0, v39
	v_and_b32_e32 v36, exec_lo, v36
	v_not_b32_e32 v39, v41
	v_ashrrev_i32_e32 v38, 31, v38
	v_xor_b32_e32 v37, vcc_lo, v37
	v_cmp_gt_i32_e32 vcc_lo, 0, v41
	v_and_b32_e32 v36, v36, v48
	v_not_b32_e32 v41, v46
	v_ashrrev_i32_e32 v39, 31, v39
	v_xor_b32_e32 v38, s0, v38
	v_cmp_gt_i32_e64 s0, 0, v46
	v_and_b32_e32 v36, v36, v37
	v_not_b32_e32 v37, v47
	v_ashrrev_i32_e32 v41, 31, v41
	v_xor_b32_e32 v39, vcc_lo, v39
	v_cmp_gt_i32_e32 vcc_lo, 0, v47
	v_and_b32_e32 v36, v36, v38
	v_not_b32_e32 v38, v40
	v_ashrrev_i32_e32 v37, 31, v37
	v_xor_b32_e32 v41, s0, v41
	v_lshl_add_u32 v3, v3, 3, v3
	v_and_b32_e32 v36, v36, v39
	v_cmp_gt_i32_e64 s0, 0, v40
	v_ashrrev_i32_e32 v38, 31, v38
	v_xor_b32_e32 v37, vcc_lo, v37
	v_add_lshl_u32 v48, v2, v3, 2
	v_and_b32_e32 v36, v36, v41
	s_delay_alu instid0(VALU_DEP_4) | instskip(SKIP_2) | instid1(VALU_DEP_1)
	v_xor_b32_e32 v3, s0, v38
	ds_load_b32 v46, v48 offset:32
	v_and_b32_e32 v36, v36, v37
	; wave barrier
	v_and_b32_e32 v3, v36, v3
	s_delay_alu instid0(VALU_DEP_1) | instskip(SKIP_1) | instid1(VALU_DEP_2)
	v_mbcnt_lo_u32_b32 v47, v3, 0
	v_cmp_ne_u32_e64 s0, 0, v3
	v_cmp_eq_u32_e32 vcc_lo, 0, v47
	s_delay_alu instid0(VALU_DEP_2) | instskip(NEXT) | instid1(SALU_CYCLE_1)
	s_and_b32 s4, s0, vcc_lo
	s_and_saveexec_b32 s0, s4
	s_cbranch_execz .LBB24_169
; %bb.168:
	s_waitcnt lgkmcnt(0)
	v_bcnt_u32_b32 v3, v3, v46
	ds_store_b32 v48, v3 offset:32
.LBB24_169:
	s_or_b32 exec_lo, exec_lo, s0
	v_xor_b32_e32 v33, 0x80000000, v33
	; wave barrier
	s_delay_alu instid0(VALU_DEP_1) | instskip(NEXT) | instid1(VALU_DEP_1)
	v_lshrrev_b64 v[36:37], s48, v[32:33]
	v_and_b32_e32 v3, s1, v36
	s_delay_alu instid0(VALU_DEP_1)
	v_and_b32_e32 v36, 1, v3
	v_lshlrev_b32_e32 v37, 30, v3
	v_lshlrev_b32_e32 v38, 29, v3
	;; [unrolled: 1-line block ×4, first 2 shown]
	v_add_co_u32 v36, s0, v36, -1
	s_delay_alu instid0(VALU_DEP_1)
	v_cndmask_b32_e64 v40, 0, 1, s0
	v_not_b32_e32 v51, v37
	v_cmp_gt_i32_e64 s0, 0, v37
	v_not_b32_e32 v37, v38
	v_lshlrev_b32_e32 v49, 26, v3
	v_cmp_ne_u32_e32 vcc_lo, 0, v40
	v_ashrrev_i32_e32 v51, 31, v51
	v_lshlrev_b32_e32 v50, 25, v3
	v_ashrrev_i32_e32 v37, 31, v37
	v_lshlrev_b32_e32 v40, 24, v3
	v_xor_b32_e32 v36, vcc_lo, v36
	v_cmp_gt_i32_e32 vcc_lo, 0, v38
	v_not_b32_e32 v38, v39
	v_xor_b32_e32 v51, s0, v51
	v_cmp_gt_i32_e64 s0, 0, v39
	v_and_b32_e32 v36, exec_lo, v36
	v_not_b32_e32 v39, v41
	v_ashrrev_i32_e32 v38, 31, v38
	v_xor_b32_e32 v37, vcc_lo, v37
	v_cmp_gt_i32_e32 vcc_lo, 0, v41
	v_and_b32_e32 v36, v36, v51
	v_not_b32_e32 v41, v49
	v_ashrrev_i32_e32 v39, 31, v39
	v_xor_b32_e32 v38, s0, v38
	v_cmp_gt_i32_e64 s0, 0, v49
	v_and_b32_e32 v36, v36, v37
	v_not_b32_e32 v37, v50
	v_ashrrev_i32_e32 v41, 31, v41
	v_xor_b32_e32 v39, vcc_lo, v39
	v_cmp_gt_i32_e32 vcc_lo, 0, v50
	v_and_b32_e32 v36, v36, v38
	v_not_b32_e32 v38, v40
	v_ashrrev_i32_e32 v37, 31, v37
	v_xor_b32_e32 v41, s0, v41
	v_lshl_add_u32 v3, v3, 3, v3
	v_and_b32_e32 v36, v36, v39
	v_cmp_gt_i32_e64 s0, 0, v40
	v_ashrrev_i32_e32 v38, 31, v38
	v_xor_b32_e32 v37, vcc_lo, v37
	v_add_lshl_u32 v51, v2, v3, 2
	v_and_b32_e32 v36, v36, v41
	s_delay_alu instid0(VALU_DEP_4) | instskip(SKIP_2) | instid1(VALU_DEP_1)
	v_xor_b32_e32 v3, s0, v38
	ds_load_b32 v49, v51 offset:32
	v_and_b32_e32 v36, v36, v37
	; wave barrier
	v_and_b32_e32 v3, v36, v3
	s_delay_alu instid0(VALU_DEP_1) | instskip(SKIP_1) | instid1(VALU_DEP_2)
	v_mbcnt_lo_u32_b32 v50, v3, 0
	v_cmp_ne_u32_e64 s0, 0, v3
	v_cmp_eq_u32_e32 vcc_lo, 0, v50
	s_delay_alu instid0(VALU_DEP_2) | instskip(NEXT) | instid1(SALU_CYCLE_1)
	s_and_b32 s4, s0, vcc_lo
	s_and_saveexec_b32 s0, s4
	s_cbranch_execz .LBB24_171
; %bb.170:
	s_waitcnt lgkmcnt(0)
	v_bcnt_u32_b32 v3, v3, v49
	ds_store_b32 v51, v3 offset:32
.LBB24_171:
	s_or_b32 exec_lo, exec_lo, s0
	v_xor_b32_e32 v31, 0x80000000, v31
	; wave barrier
	s_delay_alu instid0(VALU_DEP_1) | instskip(NEXT) | instid1(VALU_DEP_1)
	v_lshrrev_b64 v[36:37], s48, v[30:31]
	v_and_b32_e32 v3, s1, v36
	s_delay_alu instid0(VALU_DEP_1)
	v_and_b32_e32 v36, 1, v3
	v_lshlrev_b32_e32 v37, 30, v3
	v_lshlrev_b32_e32 v38, 29, v3
	;; [unrolled: 1-line block ×4, first 2 shown]
	v_add_co_u32 v36, s0, v36, -1
	s_delay_alu instid0(VALU_DEP_1)
	v_cndmask_b32_e64 v40, 0, 1, s0
	v_not_b32_e32 v54, v37
	v_cmp_gt_i32_e64 s0, 0, v37
	v_not_b32_e32 v37, v38
	v_lshlrev_b32_e32 v52, 26, v3
	v_cmp_ne_u32_e32 vcc_lo, 0, v40
	v_ashrrev_i32_e32 v54, 31, v54
	v_lshlrev_b32_e32 v53, 25, v3
	v_ashrrev_i32_e32 v37, 31, v37
	v_lshlrev_b32_e32 v40, 24, v3
	v_xor_b32_e32 v36, vcc_lo, v36
	v_cmp_gt_i32_e32 vcc_lo, 0, v38
	v_not_b32_e32 v38, v39
	v_xor_b32_e32 v54, s0, v54
	v_cmp_gt_i32_e64 s0, 0, v39
	v_and_b32_e32 v36, exec_lo, v36
	v_not_b32_e32 v39, v41
	v_ashrrev_i32_e32 v38, 31, v38
	v_xor_b32_e32 v37, vcc_lo, v37
	v_cmp_gt_i32_e32 vcc_lo, 0, v41
	v_and_b32_e32 v36, v36, v54
	v_not_b32_e32 v41, v52
	v_ashrrev_i32_e32 v39, 31, v39
	v_xor_b32_e32 v38, s0, v38
	v_cmp_gt_i32_e64 s0, 0, v52
	v_and_b32_e32 v36, v36, v37
	v_not_b32_e32 v37, v53
	v_ashrrev_i32_e32 v41, 31, v41
	v_xor_b32_e32 v39, vcc_lo, v39
	v_cmp_gt_i32_e32 vcc_lo, 0, v53
	v_and_b32_e32 v36, v36, v38
	v_not_b32_e32 v38, v40
	v_ashrrev_i32_e32 v37, 31, v37
	v_xor_b32_e32 v41, s0, v41
	v_lshl_add_u32 v3, v3, 3, v3
	v_and_b32_e32 v36, v36, v39
	v_cmp_gt_i32_e64 s0, 0, v40
	v_ashrrev_i32_e32 v38, 31, v38
	v_xor_b32_e32 v37, vcc_lo, v37
	v_add_lshl_u32 v54, v2, v3, 2
	v_and_b32_e32 v36, v36, v41
	s_delay_alu instid0(VALU_DEP_4) | instskip(SKIP_2) | instid1(VALU_DEP_1)
	v_xor_b32_e32 v3, s0, v38
	ds_load_b32 v52, v54 offset:32
	v_and_b32_e32 v36, v36, v37
	; wave barrier
	v_and_b32_e32 v3, v36, v3
	s_delay_alu instid0(VALU_DEP_1) | instskip(SKIP_1) | instid1(VALU_DEP_2)
	v_mbcnt_lo_u32_b32 v53, v3, 0
	v_cmp_ne_u32_e64 s0, 0, v3
	v_cmp_eq_u32_e32 vcc_lo, 0, v53
	s_delay_alu instid0(VALU_DEP_2) | instskip(NEXT) | instid1(SALU_CYCLE_1)
	s_and_b32 s4, s0, vcc_lo
	s_and_saveexec_b32 s0, s4
	s_cbranch_execz .LBB24_173
; %bb.172:
	s_waitcnt lgkmcnt(0)
	v_bcnt_u32_b32 v3, v3, v52
	ds_store_b32 v54, v3 offset:32
.LBB24_173:
	s_or_b32 exec_lo, exec_lo, s0
	v_xor_b32_e32 v29, 0x80000000, v29
	; wave barrier
	s_delay_alu instid0(VALU_DEP_1) | instskip(NEXT) | instid1(VALU_DEP_1)
	v_lshrrev_b64 v[36:37], s48, v[28:29]
	v_and_b32_e32 v3, s1, v36
	s_delay_alu instid0(VALU_DEP_1)
	v_and_b32_e32 v36, 1, v3
	v_lshlrev_b32_e32 v37, 30, v3
	v_lshlrev_b32_e32 v38, 29, v3
	;; [unrolled: 1-line block ×4, first 2 shown]
	v_add_co_u32 v36, s0, v36, -1
	s_delay_alu instid0(VALU_DEP_1)
	v_cndmask_b32_e64 v40, 0, 1, s0
	v_not_b32_e32 v57, v37
	v_cmp_gt_i32_e64 s0, 0, v37
	v_not_b32_e32 v37, v38
	v_lshlrev_b32_e32 v55, 26, v3
	v_cmp_ne_u32_e32 vcc_lo, 0, v40
	v_ashrrev_i32_e32 v57, 31, v57
	v_lshlrev_b32_e32 v56, 25, v3
	v_ashrrev_i32_e32 v37, 31, v37
	v_lshlrev_b32_e32 v40, 24, v3
	v_xor_b32_e32 v36, vcc_lo, v36
	v_cmp_gt_i32_e32 vcc_lo, 0, v38
	v_not_b32_e32 v38, v39
	v_xor_b32_e32 v57, s0, v57
	v_cmp_gt_i32_e64 s0, 0, v39
	v_and_b32_e32 v36, exec_lo, v36
	v_not_b32_e32 v39, v41
	v_ashrrev_i32_e32 v38, 31, v38
	v_xor_b32_e32 v37, vcc_lo, v37
	v_cmp_gt_i32_e32 vcc_lo, 0, v41
	v_and_b32_e32 v36, v36, v57
	v_not_b32_e32 v41, v55
	v_ashrrev_i32_e32 v39, 31, v39
	v_xor_b32_e32 v38, s0, v38
	v_cmp_gt_i32_e64 s0, 0, v55
	v_and_b32_e32 v36, v36, v37
	v_not_b32_e32 v37, v56
	v_ashrrev_i32_e32 v41, 31, v41
	v_xor_b32_e32 v39, vcc_lo, v39
	v_cmp_gt_i32_e32 vcc_lo, 0, v56
	v_and_b32_e32 v36, v36, v38
	v_not_b32_e32 v38, v40
	v_ashrrev_i32_e32 v37, 31, v37
	v_xor_b32_e32 v41, s0, v41
	v_lshl_add_u32 v3, v3, 3, v3
	v_and_b32_e32 v36, v36, v39
	v_cmp_gt_i32_e64 s0, 0, v40
	v_ashrrev_i32_e32 v38, 31, v38
	v_xor_b32_e32 v37, vcc_lo, v37
	v_add_lshl_u32 v57, v2, v3, 2
	v_and_b32_e32 v36, v36, v41
	s_delay_alu instid0(VALU_DEP_4) | instskip(SKIP_2) | instid1(VALU_DEP_1)
	v_xor_b32_e32 v3, s0, v38
	ds_load_b32 v55, v57 offset:32
	v_and_b32_e32 v36, v36, v37
	; wave barrier
	v_and_b32_e32 v3, v36, v3
	s_delay_alu instid0(VALU_DEP_1) | instskip(SKIP_1) | instid1(VALU_DEP_2)
	v_mbcnt_lo_u32_b32 v56, v3, 0
	v_cmp_ne_u32_e64 s0, 0, v3
	v_cmp_eq_u32_e32 vcc_lo, 0, v56
	s_delay_alu instid0(VALU_DEP_2) | instskip(NEXT) | instid1(SALU_CYCLE_1)
	s_and_b32 s4, s0, vcc_lo
	s_and_saveexec_b32 s0, s4
	s_cbranch_execz .LBB24_175
; %bb.174:
	s_waitcnt lgkmcnt(0)
	v_bcnt_u32_b32 v3, v3, v55
	ds_store_b32 v57, v3 offset:32
.LBB24_175:
	s_or_b32 exec_lo, exec_lo, s0
	v_xor_b32_e32 v27, 0x80000000, v27
	; wave barrier
	s_delay_alu instid0(VALU_DEP_1) | instskip(NEXT) | instid1(VALU_DEP_1)
	v_lshrrev_b64 v[36:37], s48, v[26:27]
	v_and_b32_e32 v3, s1, v36
	s_delay_alu instid0(VALU_DEP_1)
	v_and_b32_e32 v36, 1, v3
	v_lshlrev_b32_e32 v37, 30, v3
	v_lshlrev_b32_e32 v38, 29, v3
	;; [unrolled: 1-line block ×4, first 2 shown]
	v_add_co_u32 v36, s0, v36, -1
	s_delay_alu instid0(VALU_DEP_1)
	v_cndmask_b32_e64 v40, 0, 1, s0
	v_not_b32_e32 v60, v37
	v_cmp_gt_i32_e64 s0, 0, v37
	v_not_b32_e32 v37, v38
	v_lshlrev_b32_e32 v58, 26, v3
	v_cmp_ne_u32_e32 vcc_lo, 0, v40
	v_ashrrev_i32_e32 v60, 31, v60
	v_lshlrev_b32_e32 v59, 25, v3
	v_ashrrev_i32_e32 v37, 31, v37
	v_lshlrev_b32_e32 v40, 24, v3
	v_xor_b32_e32 v36, vcc_lo, v36
	v_cmp_gt_i32_e32 vcc_lo, 0, v38
	v_not_b32_e32 v38, v39
	v_xor_b32_e32 v60, s0, v60
	v_cmp_gt_i32_e64 s0, 0, v39
	v_and_b32_e32 v36, exec_lo, v36
	v_not_b32_e32 v39, v41
	v_ashrrev_i32_e32 v38, 31, v38
	v_xor_b32_e32 v37, vcc_lo, v37
	v_cmp_gt_i32_e32 vcc_lo, 0, v41
	v_and_b32_e32 v36, v36, v60
	v_not_b32_e32 v41, v58
	v_ashrrev_i32_e32 v39, 31, v39
	v_xor_b32_e32 v38, s0, v38
	v_cmp_gt_i32_e64 s0, 0, v58
	v_and_b32_e32 v36, v36, v37
	v_not_b32_e32 v37, v59
	v_ashrrev_i32_e32 v41, 31, v41
	v_xor_b32_e32 v39, vcc_lo, v39
	v_cmp_gt_i32_e32 vcc_lo, 0, v59
	v_and_b32_e32 v36, v36, v38
	v_not_b32_e32 v38, v40
	v_ashrrev_i32_e32 v37, 31, v37
	v_xor_b32_e32 v41, s0, v41
	v_lshl_add_u32 v3, v3, 3, v3
	v_and_b32_e32 v36, v36, v39
	v_cmp_gt_i32_e64 s0, 0, v40
	v_ashrrev_i32_e32 v38, 31, v38
	v_xor_b32_e32 v37, vcc_lo, v37
	v_add_lshl_u32 v60, v2, v3, 2
	v_and_b32_e32 v36, v36, v41
	s_delay_alu instid0(VALU_DEP_4) | instskip(SKIP_2) | instid1(VALU_DEP_1)
	v_xor_b32_e32 v3, s0, v38
	ds_load_b32 v58, v60 offset:32
	v_and_b32_e32 v36, v36, v37
	; wave barrier
	v_and_b32_e32 v3, v36, v3
	s_delay_alu instid0(VALU_DEP_1) | instskip(SKIP_1) | instid1(VALU_DEP_2)
	v_mbcnt_lo_u32_b32 v59, v3, 0
	v_cmp_ne_u32_e64 s0, 0, v3
	v_cmp_eq_u32_e32 vcc_lo, 0, v59
	s_delay_alu instid0(VALU_DEP_2) | instskip(NEXT) | instid1(SALU_CYCLE_1)
	s_and_b32 s4, s0, vcc_lo
	s_and_saveexec_b32 s0, s4
	s_cbranch_execz .LBB24_177
; %bb.176:
	s_waitcnt lgkmcnt(0)
	v_bcnt_u32_b32 v3, v3, v58
	ds_store_b32 v60, v3 offset:32
.LBB24_177:
	s_or_b32 exec_lo, exec_lo, s0
	v_xor_b32_e32 v25, 0x80000000, v25
	; wave barrier
	s_delay_alu instid0(VALU_DEP_1) | instskip(NEXT) | instid1(VALU_DEP_1)
	v_lshrrev_b64 v[36:37], s48, v[24:25]
	v_and_b32_e32 v3, s1, v36
	s_delay_alu instid0(VALU_DEP_1)
	v_and_b32_e32 v36, 1, v3
	v_lshlrev_b32_e32 v37, 30, v3
	v_lshlrev_b32_e32 v38, 29, v3
	;; [unrolled: 1-line block ×4, first 2 shown]
	v_add_co_u32 v36, s0, v36, -1
	s_delay_alu instid0(VALU_DEP_1)
	v_cndmask_b32_e64 v40, 0, 1, s0
	v_not_b32_e32 v63, v37
	v_cmp_gt_i32_e64 s0, 0, v37
	v_not_b32_e32 v37, v38
	v_lshlrev_b32_e32 v61, 26, v3
	v_cmp_ne_u32_e32 vcc_lo, 0, v40
	v_ashrrev_i32_e32 v63, 31, v63
	v_lshlrev_b32_e32 v62, 25, v3
	v_ashrrev_i32_e32 v37, 31, v37
	v_lshlrev_b32_e32 v40, 24, v3
	v_xor_b32_e32 v36, vcc_lo, v36
	v_cmp_gt_i32_e32 vcc_lo, 0, v38
	v_not_b32_e32 v38, v39
	v_xor_b32_e32 v63, s0, v63
	v_cmp_gt_i32_e64 s0, 0, v39
	v_and_b32_e32 v36, exec_lo, v36
	v_not_b32_e32 v39, v41
	v_ashrrev_i32_e32 v38, 31, v38
	v_xor_b32_e32 v37, vcc_lo, v37
	v_cmp_gt_i32_e32 vcc_lo, 0, v41
	v_and_b32_e32 v36, v36, v63
	v_not_b32_e32 v41, v61
	v_ashrrev_i32_e32 v39, 31, v39
	v_xor_b32_e32 v38, s0, v38
	v_cmp_gt_i32_e64 s0, 0, v61
	v_and_b32_e32 v36, v36, v37
	v_not_b32_e32 v37, v62
	v_ashrrev_i32_e32 v41, 31, v41
	v_xor_b32_e32 v39, vcc_lo, v39
	v_cmp_gt_i32_e32 vcc_lo, 0, v62
	v_and_b32_e32 v36, v36, v38
	v_not_b32_e32 v38, v40
	v_ashrrev_i32_e32 v37, 31, v37
	v_xor_b32_e32 v41, s0, v41
	v_lshl_add_u32 v3, v3, 3, v3
	v_and_b32_e32 v36, v36, v39
	v_cmp_gt_i32_e64 s0, 0, v40
	v_ashrrev_i32_e32 v38, 31, v38
	v_xor_b32_e32 v37, vcc_lo, v37
	v_add_lshl_u32 v63, v2, v3, 2
	v_and_b32_e32 v36, v36, v41
	s_delay_alu instid0(VALU_DEP_4) | instskip(SKIP_2) | instid1(VALU_DEP_1)
	v_xor_b32_e32 v3, s0, v38
	ds_load_b32 v61, v63 offset:32
	v_and_b32_e32 v36, v36, v37
	; wave barrier
	v_and_b32_e32 v3, v36, v3
	s_delay_alu instid0(VALU_DEP_1) | instskip(SKIP_1) | instid1(VALU_DEP_2)
	v_mbcnt_lo_u32_b32 v62, v3, 0
	v_cmp_ne_u32_e64 s0, 0, v3
	v_cmp_eq_u32_e32 vcc_lo, 0, v62
	s_delay_alu instid0(VALU_DEP_2) | instskip(NEXT) | instid1(SALU_CYCLE_1)
	s_and_b32 s4, s0, vcc_lo
	s_and_saveexec_b32 s0, s4
	s_cbranch_execz .LBB24_179
; %bb.178:
	s_waitcnt lgkmcnt(0)
	v_bcnt_u32_b32 v3, v3, v61
	ds_store_b32 v63, v3 offset:32
.LBB24_179:
	s_or_b32 exec_lo, exec_lo, s0
	v_xor_b32_e32 v23, 0x80000000, v23
	; wave barrier
	s_delay_alu instid0(VALU_DEP_1) | instskip(NEXT) | instid1(VALU_DEP_1)
	v_lshrrev_b64 v[36:37], s48, v[22:23]
	v_and_b32_e32 v3, s1, v36
	s_delay_alu instid0(VALU_DEP_1)
	v_and_b32_e32 v36, 1, v3
	v_lshlrev_b32_e32 v37, 30, v3
	v_lshlrev_b32_e32 v38, 29, v3
	;; [unrolled: 1-line block ×4, first 2 shown]
	v_add_co_u32 v36, s0, v36, -1
	s_delay_alu instid0(VALU_DEP_1)
	v_cndmask_b32_e64 v40, 0, 1, s0
	v_not_b32_e32 v66, v37
	v_cmp_gt_i32_e64 s0, 0, v37
	v_not_b32_e32 v37, v38
	v_lshlrev_b32_e32 v64, 26, v3
	v_cmp_ne_u32_e32 vcc_lo, 0, v40
	v_ashrrev_i32_e32 v66, 31, v66
	v_lshlrev_b32_e32 v65, 25, v3
	v_ashrrev_i32_e32 v37, 31, v37
	v_lshlrev_b32_e32 v40, 24, v3
	v_xor_b32_e32 v36, vcc_lo, v36
	v_cmp_gt_i32_e32 vcc_lo, 0, v38
	v_not_b32_e32 v38, v39
	v_xor_b32_e32 v66, s0, v66
	v_cmp_gt_i32_e64 s0, 0, v39
	v_and_b32_e32 v36, exec_lo, v36
	v_not_b32_e32 v39, v41
	v_ashrrev_i32_e32 v38, 31, v38
	v_xor_b32_e32 v37, vcc_lo, v37
	v_cmp_gt_i32_e32 vcc_lo, 0, v41
	v_and_b32_e32 v36, v36, v66
	v_not_b32_e32 v41, v64
	v_ashrrev_i32_e32 v39, 31, v39
	v_xor_b32_e32 v38, s0, v38
	v_cmp_gt_i32_e64 s0, 0, v64
	v_and_b32_e32 v36, v36, v37
	v_not_b32_e32 v37, v65
	v_ashrrev_i32_e32 v41, 31, v41
	v_xor_b32_e32 v39, vcc_lo, v39
	v_cmp_gt_i32_e32 vcc_lo, 0, v65
	v_and_b32_e32 v36, v36, v38
	v_not_b32_e32 v38, v40
	v_ashrrev_i32_e32 v37, 31, v37
	v_xor_b32_e32 v41, s0, v41
	v_lshl_add_u32 v3, v3, 3, v3
	v_and_b32_e32 v36, v36, v39
	v_cmp_gt_i32_e64 s0, 0, v40
	v_ashrrev_i32_e32 v38, 31, v38
	v_xor_b32_e32 v37, vcc_lo, v37
	v_add_lshl_u32 v66, v2, v3, 2
	v_and_b32_e32 v36, v36, v41
	s_delay_alu instid0(VALU_DEP_4) | instskip(SKIP_2) | instid1(VALU_DEP_1)
	v_xor_b32_e32 v3, s0, v38
	ds_load_b32 v64, v66 offset:32
	v_and_b32_e32 v36, v36, v37
	; wave barrier
	v_and_b32_e32 v3, v36, v3
	s_delay_alu instid0(VALU_DEP_1) | instskip(SKIP_1) | instid1(VALU_DEP_2)
	v_mbcnt_lo_u32_b32 v65, v3, 0
	v_cmp_ne_u32_e64 s0, 0, v3
	v_cmp_eq_u32_e32 vcc_lo, 0, v65
	s_delay_alu instid0(VALU_DEP_2) | instskip(NEXT) | instid1(SALU_CYCLE_1)
	s_and_b32 s4, s0, vcc_lo
	s_and_saveexec_b32 s0, s4
	s_cbranch_execz .LBB24_181
; %bb.180:
	s_waitcnt lgkmcnt(0)
	v_bcnt_u32_b32 v3, v3, v64
	ds_store_b32 v66, v3 offset:32
.LBB24_181:
	s_or_b32 exec_lo, exec_lo, s0
	v_xor_b32_e32 v21, 0x80000000, v21
	; wave barrier
	s_delay_alu instid0(VALU_DEP_1) | instskip(NEXT) | instid1(VALU_DEP_1)
	v_lshrrev_b64 v[36:37], s48, v[20:21]
	v_and_b32_e32 v3, s1, v36
	s_delay_alu instid0(VALU_DEP_1)
	v_and_b32_e32 v36, 1, v3
	v_lshlrev_b32_e32 v37, 30, v3
	v_lshlrev_b32_e32 v38, 29, v3
	;; [unrolled: 1-line block ×4, first 2 shown]
	v_add_co_u32 v36, s0, v36, -1
	s_delay_alu instid0(VALU_DEP_1)
	v_cndmask_b32_e64 v40, 0, 1, s0
	v_not_b32_e32 v69, v37
	v_cmp_gt_i32_e64 s0, 0, v37
	v_not_b32_e32 v37, v38
	v_lshlrev_b32_e32 v67, 26, v3
	v_cmp_ne_u32_e32 vcc_lo, 0, v40
	v_ashrrev_i32_e32 v69, 31, v69
	v_lshlrev_b32_e32 v68, 25, v3
	v_ashrrev_i32_e32 v37, 31, v37
	v_lshlrev_b32_e32 v40, 24, v3
	v_xor_b32_e32 v36, vcc_lo, v36
	v_cmp_gt_i32_e32 vcc_lo, 0, v38
	v_not_b32_e32 v38, v39
	v_xor_b32_e32 v69, s0, v69
	v_cmp_gt_i32_e64 s0, 0, v39
	v_and_b32_e32 v36, exec_lo, v36
	v_not_b32_e32 v39, v41
	v_ashrrev_i32_e32 v38, 31, v38
	v_xor_b32_e32 v37, vcc_lo, v37
	v_cmp_gt_i32_e32 vcc_lo, 0, v41
	v_and_b32_e32 v36, v36, v69
	v_not_b32_e32 v41, v67
	v_ashrrev_i32_e32 v39, 31, v39
	v_xor_b32_e32 v38, s0, v38
	v_cmp_gt_i32_e64 s0, 0, v67
	v_and_b32_e32 v36, v36, v37
	v_not_b32_e32 v37, v68
	v_ashrrev_i32_e32 v41, 31, v41
	v_xor_b32_e32 v39, vcc_lo, v39
	v_cmp_gt_i32_e32 vcc_lo, 0, v68
	v_and_b32_e32 v36, v36, v38
	v_not_b32_e32 v38, v40
	v_ashrrev_i32_e32 v37, 31, v37
	v_xor_b32_e32 v41, s0, v41
	v_lshl_add_u32 v3, v3, 3, v3
	v_and_b32_e32 v36, v36, v39
	v_cmp_gt_i32_e64 s0, 0, v40
	v_ashrrev_i32_e32 v38, 31, v38
	v_xor_b32_e32 v37, vcc_lo, v37
	v_add_lshl_u32 v69, v2, v3, 2
	v_and_b32_e32 v36, v36, v41
	s_delay_alu instid0(VALU_DEP_4) | instskip(SKIP_2) | instid1(VALU_DEP_1)
	v_xor_b32_e32 v3, s0, v38
	ds_load_b32 v67, v69 offset:32
	v_and_b32_e32 v36, v36, v37
	; wave barrier
	v_and_b32_e32 v3, v36, v3
	s_delay_alu instid0(VALU_DEP_1) | instskip(SKIP_1) | instid1(VALU_DEP_2)
	v_mbcnt_lo_u32_b32 v68, v3, 0
	v_cmp_ne_u32_e64 s0, 0, v3
	v_cmp_eq_u32_e32 vcc_lo, 0, v68
	s_delay_alu instid0(VALU_DEP_2) | instskip(NEXT) | instid1(SALU_CYCLE_1)
	s_and_b32 s4, s0, vcc_lo
	s_and_saveexec_b32 s0, s4
	s_cbranch_execz .LBB24_183
; %bb.182:
	s_waitcnt lgkmcnt(0)
	v_bcnt_u32_b32 v3, v3, v67
	ds_store_b32 v69, v3 offset:32
.LBB24_183:
	s_or_b32 exec_lo, exec_lo, s0
	v_xor_b32_e32 v19, 0x80000000, v19
	; wave barrier
	s_delay_alu instid0(VALU_DEP_1) | instskip(NEXT) | instid1(VALU_DEP_1)
	v_lshrrev_b64 v[36:37], s48, v[18:19]
	v_and_b32_e32 v3, s1, v36
	s_delay_alu instid0(VALU_DEP_1)
	v_and_b32_e32 v36, 1, v3
	v_lshlrev_b32_e32 v37, 30, v3
	v_lshlrev_b32_e32 v38, 29, v3
	;; [unrolled: 1-line block ×4, first 2 shown]
	v_add_co_u32 v36, s0, v36, -1
	s_delay_alu instid0(VALU_DEP_1)
	v_cndmask_b32_e64 v40, 0, 1, s0
	v_not_b32_e32 v72, v37
	v_cmp_gt_i32_e64 s0, 0, v37
	v_not_b32_e32 v37, v38
	v_lshlrev_b32_e32 v70, 26, v3
	v_cmp_ne_u32_e32 vcc_lo, 0, v40
	v_ashrrev_i32_e32 v72, 31, v72
	v_lshlrev_b32_e32 v71, 25, v3
	v_ashrrev_i32_e32 v37, 31, v37
	v_lshlrev_b32_e32 v40, 24, v3
	v_xor_b32_e32 v36, vcc_lo, v36
	v_cmp_gt_i32_e32 vcc_lo, 0, v38
	v_not_b32_e32 v38, v39
	v_xor_b32_e32 v72, s0, v72
	v_cmp_gt_i32_e64 s0, 0, v39
	v_and_b32_e32 v36, exec_lo, v36
	v_not_b32_e32 v39, v41
	v_ashrrev_i32_e32 v38, 31, v38
	v_xor_b32_e32 v37, vcc_lo, v37
	v_cmp_gt_i32_e32 vcc_lo, 0, v41
	v_and_b32_e32 v36, v36, v72
	v_not_b32_e32 v41, v70
	v_ashrrev_i32_e32 v39, 31, v39
	v_xor_b32_e32 v38, s0, v38
	v_cmp_gt_i32_e64 s0, 0, v70
	v_and_b32_e32 v36, v36, v37
	v_not_b32_e32 v37, v71
	v_ashrrev_i32_e32 v41, 31, v41
	v_xor_b32_e32 v39, vcc_lo, v39
	v_cmp_gt_i32_e32 vcc_lo, 0, v71
	v_and_b32_e32 v36, v36, v38
	v_not_b32_e32 v38, v40
	v_ashrrev_i32_e32 v37, 31, v37
	v_xor_b32_e32 v41, s0, v41
	v_lshl_add_u32 v3, v3, 3, v3
	v_and_b32_e32 v36, v36, v39
	v_cmp_gt_i32_e64 s0, 0, v40
	v_ashrrev_i32_e32 v38, 31, v38
	v_xor_b32_e32 v37, vcc_lo, v37
	v_add_lshl_u32 v72, v2, v3, 2
	v_and_b32_e32 v36, v36, v41
	s_delay_alu instid0(VALU_DEP_4) | instskip(SKIP_2) | instid1(VALU_DEP_1)
	v_xor_b32_e32 v3, s0, v38
	ds_load_b32 v70, v72 offset:32
	v_and_b32_e32 v36, v36, v37
	; wave barrier
	v_and_b32_e32 v3, v36, v3
	s_delay_alu instid0(VALU_DEP_1) | instskip(SKIP_1) | instid1(VALU_DEP_2)
	v_mbcnt_lo_u32_b32 v71, v3, 0
	v_cmp_ne_u32_e64 s0, 0, v3
	v_cmp_eq_u32_e32 vcc_lo, 0, v71
	s_delay_alu instid0(VALU_DEP_2) | instskip(NEXT) | instid1(SALU_CYCLE_1)
	s_and_b32 s4, s0, vcc_lo
	s_and_saveexec_b32 s0, s4
	s_cbranch_execz .LBB24_185
; %bb.184:
	s_waitcnt lgkmcnt(0)
	v_bcnt_u32_b32 v3, v3, v70
	ds_store_b32 v72, v3 offset:32
.LBB24_185:
	s_or_b32 exec_lo, exec_lo, s0
	v_xor_b32_e32 v17, 0x80000000, v17
	; wave barrier
	s_delay_alu instid0(VALU_DEP_1) | instskip(NEXT) | instid1(VALU_DEP_1)
	v_lshrrev_b64 v[36:37], s48, v[16:17]
	v_and_b32_e32 v3, s1, v36
	s_delay_alu instid0(VALU_DEP_1)
	v_and_b32_e32 v36, 1, v3
	v_lshlrev_b32_e32 v37, 30, v3
	v_lshlrev_b32_e32 v38, 29, v3
	v_lshlrev_b32_e32 v39, 28, v3
	v_lshlrev_b32_e32 v41, 27, v3
	v_add_co_u32 v36, s0, v36, -1
	s_delay_alu instid0(VALU_DEP_1)
	v_cndmask_b32_e64 v40, 0, 1, s0
	v_not_b32_e32 v75, v37
	v_cmp_gt_i32_e64 s0, 0, v37
	v_not_b32_e32 v37, v38
	v_lshlrev_b32_e32 v73, 26, v3
	v_cmp_ne_u32_e32 vcc_lo, 0, v40
	v_ashrrev_i32_e32 v75, 31, v75
	v_lshlrev_b32_e32 v74, 25, v3
	v_ashrrev_i32_e32 v37, 31, v37
	v_lshlrev_b32_e32 v40, 24, v3
	v_xor_b32_e32 v36, vcc_lo, v36
	v_cmp_gt_i32_e32 vcc_lo, 0, v38
	v_not_b32_e32 v38, v39
	v_xor_b32_e32 v75, s0, v75
	v_cmp_gt_i32_e64 s0, 0, v39
	v_and_b32_e32 v36, exec_lo, v36
	v_not_b32_e32 v39, v41
	v_ashrrev_i32_e32 v38, 31, v38
	v_xor_b32_e32 v37, vcc_lo, v37
	v_cmp_gt_i32_e32 vcc_lo, 0, v41
	v_and_b32_e32 v36, v36, v75
	v_not_b32_e32 v41, v73
	v_ashrrev_i32_e32 v39, 31, v39
	v_xor_b32_e32 v38, s0, v38
	v_cmp_gt_i32_e64 s0, 0, v73
	v_and_b32_e32 v36, v36, v37
	v_not_b32_e32 v37, v74
	v_ashrrev_i32_e32 v41, 31, v41
	v_xor_b32_e32 v39, vcc_lo, v39
	v_cmp_gt_i32_e32 vcc_lo, 0, v74
	v_and_b32_e32 v36, v36, v38
	v_not_b32_e32 v38, v40
	v_ashrrev_i32_e32 v37, 31, v37
	v_xor_b32_e32 v41, s0, v41
	v_lshl_add_u32 v3, v3, 3, v3
	v_and_b32_e32 v36, v36, v39
	v_cmp_gt_i32_e64 s0, 0, v40
	v_ashrrev_i32_e32 v38, 31, v38
	v_xor_b32_e32 v37, vcc_lo, v37
	v_add_lshl_u32 v75, v2, v3, 2
	v_and_b32_e32 v36, v36, v41
	s_delay_alu instid0(VALU_DEP_4) | instskip(SKIP_2) | instid1(VALU_DEP_1)
	v_xor_b32_e32 v3, s0, v38
	ds_load_b32 v73, v75 offset:32
	v_and_b32_e32 v36, v36, v37
	; wave barrier
	v_and_b32_e32 v3, v36, v3
	s_delay_alu instid0(VALU_DEP_1) | instskip(SKIP_1) | instid1(VALU_DEP_2)
	v_mbcnt_lo_u32_b32 v74, v3, 0
	v_cmp_ne_u32_e64 s0, 0, v3
	v_cmp_eq_u32_e32 vcc_lo, 0, v74
	s_delay_alu instid0(VALU_DEP_2) | instskip(NEXT) | instid1(SALU_CYCLE_1)
	s_and_b32 s4, s0, vcc_lo
	s_and_saveexec_b32 s0, s4
	s_cbranch_execz .LBB24_187
; %bb.186:
	s_waitcnt lgkmcnt(0)
	v_bcnt_u32_b32 v3, v3, v73
	ds_store_b32 v75, v3 offset:32
.LBB24_187:
	s_or_b32 exec_lo, exec_lo, s0
	v_xor_b32_e32 v15, 0x80000000, v15
	; wave barrier
	s_delay_alu instid0(VALU_DEP_1) | instskip(NEXT) | instid1(VALU_DEP_1)
	v_lshrrev_b64 v[36:37], s48, v[14:15]
	v_and_b32_e32 v3, s1, v36
	s_delay_alu instid0(VALU_DEP_1)
	v_and_b32_e32 v36, 1, v3
	v_lshlrev_b32_e32 v37, 30, v3
	v_lshlrev_b32_e32 v38, 29, v3
	;; [unrolled: 1-line block ×4, first 2 shown]
	v_add_co_u32 v36, s0, v36, -1
	s_delay_alu instid0(VALU_DEP_1)
	v_cndmask_b32_e64 v40, 0, 1, s0
	v_not_b32_e32 v78, v37
	v_cmp_gt_i32_e64 s0, 0, v37
	v_not_b32_e32 v37, v38
	v_lshlrev_b32_e32 v76, 26, v3
	v_cmp_ne_u32_e32 vcc_lo, 0, v40
	v_ashrrev_i32_e32 v78, 31, v78
	v_lshlrev_b32_e32 v77, 25, v3
	v_ashrrev_i32_e32 v37, 31, v37
	v_lshlrev_b32_e32 v40, 24, v3
	v_xor_b32_e32 v36, vcc_lo, v36
	v_cmp_gt_i32_e32 vcc_lo, 0, v38
	v_not_b32_e32 v38, v39
	v_xor_b32_e32 v78, s0, v78
	v_cmp_gt_i32_e64 s0, 0, v39
	v_and_b32_e32 v36, exec_lo, v36
	v_not_b32_e32 v39, v41
	v_ashrrev_i32_e32 v38, 31, v38
	v_xor_b32_e32 v37, vcc_lo, v37
	v_cmp_gt_i32_e32 vcc_lo, 0, v41
	v_and_b32_e32 v36, v36, v78
	v_not_b32_e32 v41, v76
	v_ashrrev_i32_e32 v39, 31, v39
	v_xor_b32_e32 v38, s0, v38
	v_cmp_gt_i32_e64 s0, 0, v76
	v_and_b32_e32 v36, v36, v37
	v_not_b32_e32 v37, v77
	v_ashrrev_i32_e32 v41, 31, v41
	v_xor_b32_e32 v39, vcc_lo, v39
	v_cmp_gt_i32_e32 vcc_lo, 0, v77
	v_and_b32_e32 v36, v36, v38
	v_not_b32_e32 v38, v40
	v_ashrrev_i32_e32 v37, 31, v37
	v_xor_b32_e32 v41, s0, v41
	v_lshl_add_u32 v3, v3, 3, v3
	v_and_b32_e32 v36, v36, v39
	v_cmp_gt_i32_e64 s0, 0, v40
	v_ashrrev_i32_e32 v38, 31, v38
	v_xor_b32_e32 v37, vcc_lo, v37
	v_add_lshl_u32 v78, v2, v3, 2
	v_and_b32_e32 v36, v36, v41
	s_delay_alu instid0(VALU_DEP_4) | instskip(SKIP_2) | instid1(VALU_DEP_1)
	v_xor_b32_e32 v3, s0, v38
	ds_load_b32 v76, v78 offset:32
	v_and_b32_e32 v36, v36, v37
	; wave barrier
	v_and_b32_e32 v3, v36, v3
	s_delay_alu instid0(VALU_DEP_1) | instskip(SKIP_1) | instid1(VALU_DEP_2)
	v_mbcnt_lo_u32_b32 v77, v3, 0
	v_cmp_ne_u32_e64 s0, 0, v3
	v_cmp_eq_u32_e32 vcc_lo, 0, v77
	s_delay_alu instid0(VALU_DEP_2) | instskip(NEXT) | instid1(SALU_CYCLE_1)
	s_and_b32 s4, s0, vcc_lo
	s_and_saveexec_b32 s0, s4
	s_cbranch_execz .LBB24_189
; %bb.188:
	s_waitcnt lgkmcnt(0)
	v_bcnt_u32_b32 v3, v3, v76
	ds_store_b32 v78, v3 offset:32
.LBB24_189:
	s_or_b32 exec_lo, exec_lo, s0
	v_xor_b32_e32 v11, 0x80000000, v11
	; wave barrier
	s_delay_alu instid0(VALU_DEP_1) | instskip(NEXT) | instid1(VALU_DEP_1)
	v_lshrrev_b64 v[36:37], s48, v[10:11]
	v_and_b32_e32 v3, s1, v36
	s_delay_alu instid0(VALU_DEP_1)
	v_and_b32_e32 v36, 1, v3
	v_lshlrev_b32_e32 v37, 30, v3
	v_lshlrev_b32_e32 v38, 29, v3
	;; [unrolled: 1-line block ×4, first 2 shown]
	v_add_co_u32 v36, s0, v36, -1
	s_delay_alu instid0(VALU_DEP_1)
	v_cndmask_b32_e64 v40, 0, 1, s0
	v_not_b32_e32 v81, v37
	v_cmp_gt_i32_e64 s0, 0, v37
	v_not_b32_e32 v37, v38
	v_lshlrev_b32_e32 v79, 26, v3
	v_cmp_ne_u32_e32 vcc_lo, 0, v40
	v_ashrrev_i32_e32 v81, 31, v81
	v_lshlrev_b32_e32 v80, 25, v3
	v_ashrrev_i32_e32 v37, 31, v37
	v_lshlrev_b32_e32 v40, 24, v3
	v_xor_b32_e32 v36, vcc_lo, v36
	v_cmp_gt_i32_e32 vcc_lo, 0, v38
	v_not_b32_e32 v38, v39
	v_xor_b32_e32 v81, s0, v81
	v_cmp_gt_i32_e64 s0, 0, v39
	v_and_b32_e32 v36, exec_lo, v36
	v_not_b32_e32 v39, v41
	v_ashrrev_i32_e32 v38, 31, v38
	v_xor_b32_e32 v37, vcc_lo, v37
	v_cmp_gt_i32_e32 vcc_lo, 0, v41
	v_and_b32_e32 v36, v36, v81
	v_not_b32_e32 v41, v79
	v_ashrrev_i32_e32 v39, 31, v39
	v_xor_b32_e32 v38, s0, v38
	v_cmp_gt_i32_e64 s0, 0, v79
	v_and_b32_e32 v36, v36, v37
	v_not_b32_e32 v37, v80
	v_ashrrev_i32_e32 v41, 31, v41
	v_xor_b32_e32 v39, vcc_lo, v39
	v_cmp_gt_i32_e32 vcc_lo, 0, v80
	v_and_b32_e32 v36, v36, v38
	v_not_b32_e32 v38, v40
	v_ashrrev_i32_e32 v37, 31, v37
	v_xor_b32_e32 v41, s0, v41
	v_lshl_add_u32 v3, v3, 3, v3
	v_and_b32_e32 v36, v36, v39
	v_cmp_gt_i32_e64 s0, 0, v40
	v_ashrrev_i32_e32 v38, 31, v38
	v_xor_b32_e32 v37, vcc_lo, v37
	v_add_lshl_u32 v81, v2, v3, 2
	v_and_b32_e32 v36, v36, v41
	s_delay_alu instid0(VALU_DEP_4) | instskip(SKIP_2) | instid1(VALU_DEP_1)
	v_xor_b32_e32 v3, s0, v38
	ds_load_b32 v79, v81 offset:32
	v_and_b32_e32 v36, v36, v37
	; wave barrier
	v_and_b32_e32 v3, v36, v3
	s_delay_alu instid0(VALU_DEP_1) | instskip(SKIP_1) | instid1(VALU_DEP_2)
	v_mbcnt_lo_u32_b32 v80, v3, 0
	v_cmp_ne_u32_e64 s0, 0, v3
	v_cmp_eq_u32_e32 vcc_lo, 0, v80
	s_delay_alu instid0(VALU_DEP_2) | instskip(NEXT) | instid1(SALU_CYCLE_1)
	s_and_b32 s4, s0, vcc_lo
	s_and_saveexec_b32 s0, s4
	s_cbranch_execz .LBB24_191
; %bb.190:
	s_waitcnt lgkmcnt(0)
	v_bcnt_u32_b32 v3, v3, v79
	ds_store_b32 v81, v3 offset:32
.LBB24_191:
	s_or_b32 exec_lo, exec_lo, s0
	v_xor_b32_e32 v9, 0x80000000, v9
	; wave barrier
	s_delay_alu instid0(VALU_DEP_1) | instskip(NEXT) | instid1(VALU_DEP_1)
	v_lshrrev_b64 v[36:37], s48, v[8:9]
	v_and_b32_e32 v3, s1, v36
	s_delay_alu instid0(VALU_DEP_1)
	v_and_b32_e32 v36, 1, v3
	v_lshlrev_b32_e32 v37, 30, v3
	v_lshlrev_b32_e32 v38, 29, v3
	;; [unrolled: 1-line block ×4, first 2 shown]
	v_add_co_u32 v36, s0, v36, -1
	s_delay_alu instid0(VALU_DEP_1)
	v_cndmask_b32_e64 v40, 0, 1, s0
	v_not_b32_e32 v84, v37
	v_cmp_gt_i32_e64 s0, 0, v37
	v_not_b32_e32 v37, v38
	v_lshlrev_b32_e32 v82, 26, v3
	v_cmp_ne_u32_e32 vcc_lo, 0, v40
	v_ashrrev_i32_e32 v84, 31, v84
	v_lshlrev_b32_e32 v83, 25, v3
	v_ashrrev_i32_e32 v37, 31, v37
	v_lshlrev_b32_e32 v40, 24, v3
	v_xor_b32_e32 v36, vcc_lo, v36
	v_cmp_gt_i32_e32 vcc_lo, 0, v38
	v_not_b32_e32 v38, v39
	v_xor_b32_e32 v84, s0, v84
	v_cmp_gt_i32_e64 s0, 0, v39
	v_and_b32_e32 v36, exec_lo, v36
	v_not_b32_e32 v39, v41
	v_ashrrev_i32_e32 v38, 31, v38
	v_xor_b32_e32 v37, vcc_lo, v37
	v_cmp_gt_i32_e32 vcc_lo, 0, v41
	v_and_b32_e32 v36, v36, v84
	v_not_b32_e32 v41, v82
	v_ashrrev_i32_e32 v39, 31, v39
	v_xor_b32_e32 v38, s0, v38
	v_cmp_gt_i32_e64 s0, 0, v82
	v_and_b32_e32 v36, v36, v37
	v_not_b32_e32 v37, v83
	v_ashrrev_i32_e32 v41, 31, v41
	v_xor_b32_e32 v39, vcc_lo, v39
	v_cmp_gt_i32_e32 vcc_lo, 0, v83
	v_and_b32_e32 v36, v36, v38
	v_not_b32_e32 v38, v40
	v_ashrrev_i32_e32 v37, 31, v37
	v_xor_b32_e32 v41, s0, v41
	v_lshl_add_u32 v3, v3, 3, v3
	v_and_b32_e32 v36, v36, v39
	v_cmp_gt_i32_e64 s0, 0, v40
	v_ashrrev_i32_e32 v38, 31, v38
	v_xor_b32_e32 v37, vcc_lo, v37
	v_add_lshl_u32 v84, v2, v3, 2
	v_and_b32_e32 v36, v36, v41
	s_delay_alu instid0(VALU_DEP_4) | instskip(SKIP_2) | instid1(VALU_DEP_1)
	v_xor_b32_e32 v3, s0, v38
	ds_load_b32 v82, v84 offset:32
	v_and_b32_e32 v36, v36, v37
	; wave barrier
	v_and_b32_e32 v3, v36, v3
	s_delay_alu instid0(VALU_DEP_1) | instskip(SKIP_1) | instid1(VALU_DEP_2)
	v_mbcnt_lo_u32_b32 v83, v3, 0
	v_cmp_ne_u32_e64 s0, 0, v3
	v_cmp_eq_u32_e32 vcc_lo, 0, v83
	s_delay_alu instid0(VALU_DEP_2) | instskip(NEXT) | instid1(SALU_CYCLE_1)
	s_and_b32 s4, s0, vcc_lo
	s_and_saveexec_b32 s0, s4
	s_cbranch_execz .LBB24_193
; %bb.192:
	s_waitcnt lgkmcnt(0)
	v_bcnt_u32_b32 v3, v3, v82
	ds_store_b32 v84, v3 offset:32
.LBB24_193:
	s_or_b32 exec_lo, exec_lo, s0
	v_xor_b32_e32 v7, 0x80000000, v7
	; wave barrier
	s_delay_alu instid0(VALU_DEP_1) | instskip(NEXT) | instid1(VALU_DEP_1)
	v_lshrrev_b64 v[36:37], s48, v[6:7]
	v_and_b32_e32 v3, s1, v36
	s_delay_alu instid0(VALU_DEP_1)
	v_and_b32_e32 v36, 1, v3
	v_lshlrev_b32_e32 v37, 30, v3
	v_lshlrev_b32_e32 v38, 29, v3
	;; [unrolled: 1-line block ×4, first 2 shown]
	v_add_co_u32 v36, s0, v36, -1
	s_delay_alu instid0(VALU_DEP_1)
	v_cndmask_b32_e64 v40, 0, 1, s0
	v_not_b32_e32 v87, v37
	v_cmp_gt_i32_e64 s0, 0, v37
	v_not_b32_e32 v37, v38
	v_lshlrev_b32_e32 v85, 26, v3
	v_cmp_ne_u32_e32 vcc_lo, 0, v40
	v_ashrrev_i32_e32 v87, 31, v87
	v_lshlrev_b32_e32 v86, 25, v3
	v_ashrrev_i32_e32 v37, 31, v37
	v_lshlrev_b32_e32 v40, 24, v3
	v_xor_b32_e32 v36, vcc_lo, v36
	v_cmp_gt_i32_e32 vcc_lo, 0, v38
	v_not_b32_e32 v38, v39
	v_xor_b32_e32 v87, s0, v87
	v_cmp_gt_i32_e64 s0, 0, v39
	v_and_b32_e32 v36, exec_lo, v36
	v_not_b32_e32 v39, v41
	v_ashrrev_i32_e32 v38, 31, v38
	v_xor_b32_e32 v37, vcc_lo, v37
	v_cmp_gt_i32_e32 vcc_lo, 0, v41
	v_and_b32_e32 v36, v36, v87
	v_not_b32_e32 v41, v85
	v_ashrrev_i32_e32 v39, 31, v39
	v_xor_b32_e32 v38, s0, v38
	v_cmp_gt_i32_e64 s0, 0, v85
	v_and_b32_e32 v36, v36, v37
	v_not_b32_e32 v37, v86
	v_ashrrev_i32_e32 v41, 31, v41
	v_xor_b32_e32 v39, vcc_lo, v39
	v_cmp_gt_i32_e32 vcc_lo, 0, v86
	v_and_b32_e32 v36, v36, v38
	v_not_b32_e32 v38, v40
	v_ashrrev_i32_e32 v37, 31, v37
	v_xor_b32_e32 v41, s0, v41
	v_lshl_add_u32 v3, v3, 3, v3
	v_and_b32_e32 v36, v36, v39
	v_cmp_gt_i32_e64 s0, 0, v40
	v_ashrrev_i32_e32 v38, 31, v38
	v_xor_b32_e32 v37, vcc_lo, v37
	v_add_lshl_u32 v87, v2, v3, 2
	v_and_b32_e32 v36, v36, v41
	s_delay_alu instid0(VALU_DEP_4) | instskip(SKIP_2) | instid1(VALU_DEP_1)
	v_xor_b32_e32 v3, s0, v38
	ds_load_b32 v85, v87 offset:32
	v_and_b32_e32 v36, v36, v37
	; wave barrier
	v_and_b32_e32 v3, v36, v3
	s_delay_alu instid0(VALU_DEP_1) | instskip(SKIP_1) | instid1(VALU_DEP_2)
	v_mbcnt_lo_u32_b32 v86, v3, 0
	v_cmp_ne_u32_e64 s0, 0, v3
	v_cmp_eq_u32_e32 vcc_lo, 0, v86
	s_delay_alu instid0(VALU_DEP_2) | instskip(NEXT) | instid1(SALU_CYCLE_1)
	s_and_b32 s4, s0, vcc_lo
	s_and_saveexec_b32 s0, s4
	s_cbranch_execz .LBB24_195
; %bb.194:
	s_waitcnt lgkmcnt(0)
	v_bcnt_u32_b32 v3, v3, v85
	ds_store_b32 v87, v3 offset:32
.LBB24_195:
	s_or_b32 exec_lo, exec_lo, s0
	v_xor_b32_e32 v5, 0x80000000, v5
	; wave barrier
	v_add_nc_u32_e32 v91, 32, v44
	s_delay_alu instid0(VALU_DEP_2) | instskip(NEXT) | instid1(VALU_DEP_1)
	v_lshrrev_b64 v[36:37], s48, v[4:5]
	v_and_b32_e32 v3, s1, v36
	s_delay_alu instid0(VALU_DEP_1)
	v_and_b32_e32 v36, 1, v3
	v_lshlrev_b32_e32 v37, 30, v3
	v_lshlrev_b32_e32 v38, 29, v3
	v_lshlrev_b32_e32 v39, 28, v3
	v_lshlrev_b32_e32 v41, 27, v3
	v_add_co_u32 v36, s0, v36, -1
	s_delay_alu instid0(VALU_DEP_1)
	v_cndmask_b32_e64 v40, 0, 1, s0
	v_not_b32_e32 v90, v37
	v_cmp_gt_i32_e64 s0, 0, v37
	v_not_b32_e32 v37, v38
	v_lshlrev_b32_e32 v88, 26, v3
	v_cmp_ne_u32_e32 vcc_lo, 0, v40
	v_ashrrev_i32_e32 v90, 31, v90
	v_lshlrev_b32_e32 v89, 25, v3
	v_ashrrev_i32_e32 v37, 31, v37
	v_lshlrev_b32_e32 v40, 24, v3
	v_xor_b32_e32 v36, vcc_lo, v36
	v_cmp_gt_i32_e32 vcc_lo, 0, v38
	v_not_b32_e32 v38, v39
	v_xor_b32_e32 v90, s0, v90
	v_cmp_gt_i32_e64 s0, 0, v39
	v_and_b32_e32 v36, exec_lo, v36
	v_not_b32_e32 v39, v41
	v_ashrrev_i32_e32 v38, 31, v38
	v_xor_b32_e32 v37, vcc_lo, v37
	v_cmp_gt_i32_e32 vcc_lo, 0, v41
	v_and_b32_e32 v36, v36, v90
	v_not_b32_e32 v41, v88
	v_ashrrev_i32_e32 v39, 31, v39
	v_xor_b32_e32 v38, s0, v38
	v_cmp_gt_i32_e64 s0, 0, v88
	v_and_b32_e32 v36, v36, v37
	v_not_b32_e32 v37, v89
	v_ashrrev_i32_e32 v41, 31, v41
	v_xor_b32_e32 v39, vcc_lo, v39
	v_cmp_gt_i32_e32 vcc_lo, 0, v89
	v_and_b32_e32 v36, v36, v38
	v_not_b32_e32 v38, v40
	v_ashrrev_i32_e32 v37, 31, v37
	v_xor_b32_e32 v41, s0, v41
	v_lshl_add_u32 v3, v3, 3, v3
	v_and_b32_e32 v36, v36, v39
	v_cmp_gt_i32_e64 s0, 0, v40
	v_ashrrev_i32_e32 v38, 31, v38
	v_xor_b32_e32 v37, vcc_lo, v37
	v_add_lshl_u32 v90, v2, v3, 2
	v_and_b32_e32 v36, v36, v41
	s_delay_alu instid0(VALU_DEP_4) | instskip(SKIP_2) | instid1(VALU_DEP_1)
	v_xor_b32_e32 v2, s0, v38
	ds_load_b32 v88, v90 offset:32
	v_and_b32_e32 v3, v36, v37
	; wave barrier
	v_and_b32_e32 v2, v3, v2
	s_delay_alu instid0(VALU_DEP_1) | instskip(SKIP_1) | instid1(VALU_DEP_2)
	v_mbcnt_lo_u32_b32 v89, v2, 0
	v_cmp_ne_u32_e64 s0, 0, v2
	v_cmp_eq_u32_e32 vcc_lo, 0, v89
	s_delay_alu instid0(VALU_DEP_2) | instskip(NEXT) | instid1(SALU_CYCLE_1)
	s_and_b32 s4, s0, vcc_lo
	s_and_saveexec_b32 s0, s4
	s_cbranch_execz .LBB24_197
; %bb.196:
	s_waitcnt lgkmcnt(0)
	v_bcnt_u32_b32 v2, v2, v88
	ds_store_b32 v90, v2 offset:32
.LBB24_197:
	s_or_b32 exec_lo, exec_lo, s0
	; wave barrier
	s_waitcnt lgkmcnt(0)
	s_barrier
	buffer_gl0_inv
	ds_load_2addr_b32 v[40:41], v44 offset0:8 offset1:9
	ds_load_2addr_b32 v[38:39], v91 offset0:2 offset1:3
	;; [unrolled: 1-line block ×4, first 2 shown]
	ds_load_b32 v92, v91 offset:32
	v_bfe_i32 v95, v42, 4, 1
	s_mov_b32 s0, exec_lo
	s_waitcnt lgkmcnt(3)
	v_add3_u32 v93, v41, v40, v38
	s_waitcnt lgkmcnt(2)
	s_delay_alu instid0(VALU_DEP_1) | instskip(SKIP_1) | instid1(VALU_DEP_1)
	v_add3_u32 v93, v93, v39, v36
	s_waitcnt lgkmcnt(1)
	v_add3_u32 v93, v93, v37, v2
	s_waitcnt lgkmcnt(0)
	s_delay_alu instid0(VALU_DEP_1) | instskip(SKIP_1) | instid1(VALU_DEP_2)
	v_add3_u32 v92, v93, v3, v92
	v_and_b32_e32 v93, 15, v42
	v_mov_b32_dpp v94, v92 row_shr:1 row_mask:0xf bank_mask:0xf
	s_delay_alu instid0(VALU_DEP_2) | instskip(NEXT) | instid1(VALU_DEP_2)
	v_cmp_ne_u32_e32 vcc_lo, 0, v93
	v_cndmask_b32_e32 v94, 0, v94, vcc_lo
	v_cmp_lt_u32_e32 vcc_lo, 1, v93
	s_delay_alu instid0(VALU_DEP_2) | instskip(NEXT) | instid1(VALU_DEP_1)
	v_add_nc_u32_e32 v92, v94, v92
	v_mov_b32_dpp v94, v92 row_shr:2 row_mask:0xf bank_mask:0xf
	s_delay_alu instid0(VALU_DEP_1) | instskip(SKIP_1) | instid1(VALU_DEP_2)
	v_cndmask_b32_e32 v94, 0, v94, vcc_lo
	v_cmp_lt_u32_e32 vcc_lo, 3, v93
	v_add_nc_u32_e32 v92, v92, v94
	s_delay_alu instid0(VALU_DEP_1) | instskip(NEXT) | instid1(VALU_DEP_1)
	v_mov_b32_dpp v94, v92 row_shr:4 row_mask:0xf bank_mask:0xf
	v_cndmask_b32_e32 v94, 0, v94, vcc_lo
	v_cmp_lt_u32_e32 vcc_lo, 7, v93
	s_delay_alu instid0(VALU_DEP_2) | instskip(NEXT) | instid1(VALU_DEP_1)
	v_add_nc_u32_e32 v92, v92, v94
	v_mov_b32_dpp v94, v92 row_shr:8 row_mask:0xf bank_mask:0xf
	s_delay_alu instid0(VALU_DEP_1) | instskip(NEXT) | instid1(VALU_DEP_1)
	v_dual_cndmask_b32 v93, 0, v94 :: v_dual_and_b32 v94, 0x3e0, v1
	v_add_nc_u32_e32 v92, v92, v93
	s_delay_alu instid0(VALU_DEP_2)
	v_min_u32_e32 v94, 0xe0, v94
	ds_swizzle_b32 v93, v92 offset:swizzle(BROADCAST,32,15)
	v_or_b32_e32 v94, 31, v94
	s_waitcnt lgkmcnt(0)
	v_and_b32_e32 v95, v95, v93
	v_lshrrev_b32_e32 v93, 5, v1
	s_delay_alu instid0(VALU_DEP_2)
	v_add_nc_u32_e32 v92, v92, v95
	v_cmpx_eq_u32_e64 v94, v1
	s_cbranch_execz .LBB24_199
; %bb.198:
	s_delay_alu instid0(VALU_DEP_3)
	v_lshlrev_b32_e32 v94, 2, v93
	ds_store_b32 v94, v92
.LBB24_199:
	s_or_b32 exec_lo, exec_lo, s0
	s_delay_alu instid0(SALU_CYCLE_1)
	s_mov_b32 s0, exec_lo
	s_waitcnt lgkmcnt(0)
	s_barrier
	buffer_gl0_inv
	v_cmpx_gt_u32_e32 8, v1
	s_cbranch_execz .LBB24_201
; %bb.200:
	v_lshlrev_b32_e32 v94, 2, v1
	ds_load_b32 v95, v94
	s_waitcnt lgkmcnt(0)
	v_mov_b32_dpp v97, v95 row_shr:1 row_mask:0xf bank_mask:0xf
	v_and_b32_e32 v96, 7, v42
	s_delay_alu instid0(VALU_DEP_1) | instskip(NEXT) | instid1(VALU_DEP_3)
	v_cmp_ne_u32_e32 vcc_lo, 0, v96
	v_cndmask_b32_e32 v97, 0, v97, vcc_lo
	v_cmp_lt_u32_e32 vcc_lo, 1, v96
	s_delay_alu instid0(VALU_DEP_2) | instskip(NEXT) | instid1(VALU_DEP_1)
	v_add_nc_u32_e32 v95, v97, v95
	v_mov_b32_dpp v97, v95 row_shr:2 row_mask:0xf bank_mask:0xf
	s_delay_alu instid0(VALU_DEP_1) | instskip(SKIP_1) | instid1(VALU_DEP_2)
	v_cndmask_b32_e32 v97, 0, v97, vcc_lo
	v_cmp_lt_u32_e32 vcc_lo, 3, v96
	v_add_nc_u32_e32 v95, v95, v97
	s_delay_alu instid0(VALU_DEP_1) | instskip(NEXT) | instid1(VALU_DEP_1)
	v_mov_b32_dpp v97, v95 row_shr:4 row_mask:0xf bank_mask:0xf
	v_cndmask_b32_e32 v96, 0, v97, vcc_lo
	s_delay_alu instid0(VALU_DEP_1)
	v_add_nc_u32_e32 v95, v95, v96
	ds_store_b32 v94, v95
.LBB24_201:
	s_or_b32 exec_lo, exec_lo, s0
	v_mov_b32_e32 v94, 0
	s_mov_b32 s0, exec_lo
	s_waitcnt lgkmcnt(0)
	s_barrier
	buffer_gl0_inv
	v_cmpx_lt_u32_e32 31, v1
	s_cbranch_execz .LBB24_203
; %bb.202:
	v_lshl_add_u32 v93, v93, 2, -4
	ds_load_b32 v94, v93
.LBB24_203:
	s_or_b32 exec_lo, exec_lo, s0
	v_add_nc_u32_e32 v93, -1, v42
	s_mov_b32 s0, 0
	s_mov_b32 s4, exec_lo
	s_waitcnt lgkmcnt(0)
	v_add_nc_u32_e32 v92, v94, v92
	v_cmp_gt_i32_e32 vcc_lo, 0, v93
	v_cndmask_b32_e32 v93, v93, v42, vcc_lo
	v_cmp_eq_u32_e32 vcc_lo, 0, v42
	s_delay_alu instid0(VALU_DEP_2) | instskip(SKIP_4) | instid1(VALU_DEP_2)
	v_lshlrev_b32_e32 v93, 2, v93
	ds_bpermute_b32 v92, v93, v92
	s_waitcnt lgkmcnt(0)
	v_cndmask_b32_e32 v92, v92, v94, vcc_lo
	v_cmp_ne_u32_e32 vcc_lo, 0, v1
	v_cndmask_b32_e32 v92, 0, v92, vcc_lo
	s_delay_alu instid0(VALU_DEP_1) | instskip(NEXT) | instid1(VALU_DEP_1)
	v_add_nc_u32_e32 v40, v92, v40
	v_add_nc_u32_e32 v41, v40, v41
	s_delay_alu instid0(VALU_DEP_1) | instskip(NEXT) | instid1(VALU_DEP_1)
	v_add_nc_u32_e32 v38, v41, v38
	v_add_nc_u32_e32 v39, v38, v39
	;; [unrolled: 3-line block ×4, first 2 shown]
	ds_store_2addr_b32 v44, v92, v40 offset0:8 offset1:9
	ds_store_2addr_b32 v91, v41, v38 offset0:2 offset1:3
	;; [unrolled: 1-line block ×4, first 2 shown]
	ds_store_b32 v91, v3 offset:32
	v_mov_b32_e32 v2, 0x1000
	s_waitcnt lgkmcnt(0)
	s_barrier
	buffer_gl0_inv
	ds_load_b32 v36, v48 offset:32
	ds_load_b32 v37, v51 offset:32
	;; [unrolled: 1-line block ×17, first 2 shown]
	v_add_nc_u32_e32 v44, 1, v1
	s_delay_alu instid0(VALU_DEP_1)
	v_cmpx_ne_u32_e32 0x100, v44
	s_cbranch_execz .LBB24_205
; %bb.204:
	v_mul_u32_u24_e32 v2, 9, v44
	s_delay_alu instid0(VALU_DEP_1)
	v_lshlrev_b32_e32 v2, 2, v2
	ds_load_b32 v2, v2 offset:32
.LBB24_205:
	s_or_b32 exec_lo, exec_lo, s4
	s_waitcnt lgkmcnt(1)
	v_add_nc_u32_e32 v0, v45, v0
	v_add3_u32 v36, v47, v46, v36
	v_add3_u32 v37, v50, v49, v37
	;; [unrolled: 1-line block ×4, first 2 shown]
	v_lshlrev_b32_e32 v53, 3, v0
	v_lshlrev_b32_e32 v54, 3, v36
	v_add3_u32 v39, v56, v55, v39
	v_add3_u32 v40, v59, v58, v40
	;; [unrolled: 1-line block ×4, first 2 shown]
	s_waitcnt lgkmcnt(0)
	s_barrier
	buffer_gl0_inv
	ds_store_b64 v53, v[12:13] offset:2048
	ds_store_b64 v54, v[34:35] offset:2048
	v_lshlrev_b32_e32 v12, 3, v37
	v_add3_u32 v45, v68, v67, v51
	v_lshlrev_b32_e32 v13, 3, v38
	v_lshlrev_b32_e32 v34, 3, v39
	v_add3_u32 v47, v74, v73, v57
	v_lshlrev_b32_e32 v35, 3, v40
	v_add3_u32 v48, v77, v76, v60
	v_lshlrev_b32_e32 v53, 3, v41
	v_add3_u32 v49, v80, v79, v63
	ds_store_b64 v12, v[32:33] offset:2048
	ds_store_b64 v13, v[30:31] offset:2048
	;; [unrolled: 1-line block ×5, first 2 shown]
	v_lshlrev_b32_e32 v12, 3, v44
	v_lshlrev_b32_e32 v13, 3, v45
	;; [unrolled: 1-line block ×5, first 2 shown]
	ds_store_b64 v12, v[22:23] offset:2048
	ds_store_b64 v13, v[20:21] offset:2048
	;; [unrolled: 1-line block ×5, first 2 shown]
	v_lshlrev_b32_e32 v14, 3, v49
	v_lshl_add_u32 v12, s15, 8, v1
	v_mov_b32_e32 v13, 0
	v_add3_u32 v50, v83, v82, v66
	v_add3_u32 v51, v86, v85, v69
	;; [unrolled: 1-line block ×3, first 2 shown]
	ds_store_b64 v14, v[10:11] offset:2048
	v_lshlrev_b64 v[11:12], 2, v[12:13]
	v_lshlrev_b32_e32 v15, 3, v50
	v_lshlrev_b32_e32 v16, 3, v51
	;; [unrolled: 1-line block ×3, first 2 shown]
	v_sub_nc_u32_e32 v10, v2, v3
	v_mov_b32_e32 v2, 0
	ds_store_b64 v15, v[8:9] offset:2048
	ds_store_b64 v16, v[6:7] offset:2048
	;; [unrolled: 1-line block ×3, first 2 shown]
	v_add_co_u32 v4, vcc_lo, s52, v11
	v_add_co_ci_u32_e32 v5, vcc_lo, s53, v12, vcc_lo
	v_or_b32_e32 v6, 2.0, v10
	s_waitcnt lgkmcnt(0)
	s_barrier
	buffer_gl0_inv
                                        ; implicit-def: $sgpr4
	global_store_b32 v[4:5], v6, off
	s_branch .LBB24_208
	.p2align	6
.LBB24_206:                             ;   in Loop: Header=BB24_208 Depth=1
	s_or_b32 exec_lo, exec_lo, s5
.LBB24_207:                             ;   in Loop: Header=BB24_208 Depth=1
	s_delay_alu instid0(SALU_CYCLE_1) | instskip(SKIP_2) | instid1(VALU_DEP_2)
	s_or_b32 exec_lo, exec_lo, s4
	v_and_b32_e32 v6, 0x3fffffff, v9
	v_cmp_eq_u32_e64 s4, 0x80000000, v8
	v_add_nc_u32_e32 v2, v6, v2
	s_delay_alu instid0(VALU_DEP_2) | instskip(NEXT) | instid1(SALU_CYCLE_1)
	s_and_b32 s5, exec_lo, s4
	s_or_b32 s0, s5, s0
	s_delay_alu instid0(SALU_CYCLE_1)
	s_and_not1_b32 exec_lo, exec_lo, s0
	s_cbranch_execz .LBB24_213
.LBB24_208:                             ; =>This Loop Header: Depth=1
                                        ;     Child Loop BB24_211 Depth 2
	s_or_b32 s4, s4, exec_lo
	s_cmp_eq_u32 s54, 0
	s_cbranch_scc1 .LBB24_212
; %bb.209:                              ;   in Loop: Header=BB24_208 Depth=1
	s_add_i32 s54, s54, -1
	s_mov_b32 s4, exec_lo
	v_lshl_add_u32 v12, s54, 8, v1
	s_delay_alu instid0(VALU_DEP_1) | instskip(NEXT) | instid1(VALU_DEP_1)
	v_lshlrev_b64 v[6:7], 2, v[12:13]
	v_add_co_u32 v6, vcc_lo, s52, v6
	s_delay_alu instid0(VALU_DEP_2) | instskip(SKIP_3) | instid1(VALU_DEP_1)
	v_add_co_ci_u32_e32 v7, vcc_lo, s53, v7, vcc_lo
	global_load_b32 v9, v[6:7], off glc
	s_waitcnt vmcnt(0)
	v_and_b32_e32 v8, -2.0, v9
	v_cmpx_eq_u32_e32 0, v8
	s_cbranch_execz .LBB24_207
; %bb.210:                              ;   in Loop: Header=BB24_208 Depth=1
	s_mov_b32 s5, 0
.LBB24_211:                             ;   Parent Loop BB24_208 Depth=1
                                        ; =>  This Inner Loop Header: Depth=2
	global_load_b32 v9, v[6:7], off glc
	s_waitcnt vmcnt(0)
	v_and_b32_e32 v8, -2.0, v9
	s_delay_alu instid0(VALU_DEP_1) | instskip(SKIP_1) | instid1(SALU_CYCLE_1)
	v_cmp_ne_u32_e32 vcc_lo, 0, v8
	s_or_b32 s5, vcc_lo, s5
	s_and_not1_b32 exec_lo, exec_lo, s5
	s_cbranch_execnz .LBB24_211
	s_branch .LBB24_206
.LBB24_212:                             ;   in Loop: Header=BB24_208 Depth=1
                                        ; implicit-def: $sgpr54
	s_and_b32 s5, exec_lo, s4
	s_delay_alu instid0(SALU_CYCLE_1) | instskip(NEXT) | instid1(SALU_CYCLE_1)
	s_or_b32 s0, s5, s0
	s_and_not1_b32 exec_lo, exec_lo, s0
	s_cbranch_execnz .LBB24_208
.LBB24_213:
	s_or_b32 exec_lo, exec_lo, s0
	v_add_nc_u32_e32 v6, v2, v10
	v_lshlrev_b32_e32 v8, 3, v1
	v_sub_co_u32 v2, s0, v2, v3
	s_delay_alu instid0(VALU_DEP_3) | instskip(NEXT) | instid1(VALU_DEP_3)
	v_or_b32_e32 v6, 0x80000000, v6
	v_add_nc_u32_e32 v35, 0x1000, v8
	v_add_nc_u32_e32 v89, 0x1800, v8
	;; [unrolled: 1-line block ×4, first 2 shown]
	global_store_b32 v[4:5], v6, off
	global_load_b64 v[4:5], v8, s[44:45]
	v_sub_co_ci_u32_e64 v6, null, 0, 0, s0
	s_add_u32 s0, s40, s2
	s_addc_u32 s2, s41, 0
	v_add_co_u32 v9, s0, s0, v42
	s_delay_alu instid0(VALU_DEP_1)
	v_add_co_ci_u32_e64 v23, null, s2, 0, s0
	v_add_nc_u32_e32 v92, 0x3800, v8
	v_or_b32_e32 v93, 0x4000, v8
	v_add_nc_u32_e32 v94, 0x4800, v8
	v_add_nc_u32_e32 v95, 0x5000, v8
	v_add_nc_u32_e32 v96, 0x5800, v8
	v_or_b32_e32 v97, 0x6000, v8
	v_add_nc_u32_e32 v98, 0x6800, v8
	v_add_nc_u32_e32 v99, 0x7000, v8
	;; [unrolled: 1-line block ×3, first 2 shown]
	s_add_i32 s3, s3, -1
	s_delay_alu instid0(SALU_CYCLE_1)
	s_cmp_eq_u32 s15, s3
	s_cselect_b32 s2, -1, 0
	s_waitcnt vmcnt(0)
	v_add_co_u32 v4, vcc_lo, v2, v4
	v_add_co_ci_u32_e32 v5, vcc_lo, v6, v5, vcc_lo
	v_add_co_u32 v42, vcc_lo, v9, v43
	v_add_co_ci_u32_e32 v43, vcc_lo, 0, v23, vcc_lo
	ds_store_b64 v8, v[4:5]
	s_waitcnt lgkmcnt(0)
	s_waitcnt_vscnt null, 0x0
	s_barrier
	buffer_gl0_inv
	ds_load_2addr_stride64_b64 v[4:7], v8 offset0:4 offset1:8
	ds_load_2addr_stride64_b64 v[11:14], v8 offset0:12 offset1:16
	ds_load_2addr_stride64_b64 v[15:18], v8 offset0:20 offset1:24
	ds_load_2addr_stride64_b64 v[19:22], v8 offset0:28 offset1:32
	ds_load_2addr_stride64_b64 v[23:26], v8 offset0:36 offset1:40
	ds_load_2addr_stride64_b64 v[27:30], v8 offset0:44 offset1:48
	ds_load_2addr_stride64_b64 v[31:34], v8 offset0:52 offset1:56
	ds_load_2addr_stride64_b64 v[53:56], v8 offset0:60 offset1:64
	v_or_b32_e32 v2, 0x2000, v8
	s_waitcnt lgkmcnt(7)
	v_lshrrev_b64 v[57:58], s48, v[4:5]
	v_lshrrev_b64 v[58:59], s48, v[6:7]
	s_waitcnt lgkmcnt(6)
	v_lshrrev_b64 v[59:60], s48, v[11:12]
	v_lshrrev_b64 v[60:61], s48, v[13:14]
	;; [unrolled: 3-line block ×8, first 2 shown]
	v_and_b32_e32 v9, s1, v57
	v_and_b32_e32 v57, s1, v58
	;; [unrolled: 1-line block ×16, first 2 shown]
	v_lshlrev_b32_e32 v9, 3, v9
	v_lshlrev_b32_e32 v101, 3, v57
	;; [unrolled: 1-line block ×16, first 2 shown]
	ds_load_b64 v[57:58], v9
	ds_load_b64 v[59:60], v101
	;; [unrolled: 1-line block ×16, first 2 shown]
	v_xor_b32_e32 v5, 0x80000000, v5
	v_xor_b32_e32 v7, 0x80000000, v7
	;; [unrolled: 1-line block ×4, first 2 shown]
	s_waitcnt lgkmcnt(15)
	v_lshlrev_b64 v[57:58], 3, v[57:58]
	s_waitcnt lgkmcnt(14)
	v_lshlrev_b64 v[59:60], 3, v[59:60]
	;; [unrolled: 2-line block ×6, first 2 shown]
	v_add_co_u32 v57, vcc_lo, s38, v57
	v_add_co_ci_u32_e32 v58, vcc_lo, s39, v58, vcc_lo
	v_add_co_u32 v59, vcc_lo, s38, v59
	v_add_co_ci_u32_e32 v60, vcc_lo, s39, v60, vcc_lo
	;; [unrolled: 2-line block ×4, first 2 shown]
	s_waitcnt lgkmcnt(9)
	v_lshlrev_b64 v[69:70], 3, v[69:70]
	v_add_co_u32 v65, vcc_lo, s38, v65
	v_add_co_ci_u32_e32 v66, vcc_lo, s39, v66, vcc_lo
	s_waitcnt lgkmcnt(8)
	v_lshlrev_b64 v[71:72], 3, v[71:72]
	v_add_co_u32 v67, vcc_lo, s38, v67
	v_add_co_ci_u32_e32 v68, vcc_lo, s39, v68, vcc_lo
	;; [unrolled: 4-line block ×10, first 2 shown]
	v_add_co_u32 v85, vcc_lo, s38, v85
	v_add_co_ci_u32_e32 v86, vcc_lo, s39, v86, vcc_lo
	v_add_co_u32 v87, vcc_lo, s38, v87
	v_add_co_ci_u32_e32 v88, vcc_lo, s39, v88, vcc_lo
	;; [unrolled: 2-line block ×17, first 2 shown]
	v_add_co_u32 v87, vcc_lo, v87, v100
	v_xor_b32_e32 v16, 0x80000000, v16
	v_xor_b32_e32 v18, 0x80000000, v18
	v_xor_b32_e32 v20, 0x80000000, v20
	v_xor_b32_e32 v22, 0x80000000, v22
	v_xor_b32_e32 v24, 0x80000000, v24
	v_xor_b32_e32 v26, 0x80000000, v26
	v_xor_b32_e32 v28, 0x80000000, v28
	v_xor_b32_e32 v30, 0x80000000, v30
	v_xor_b32_e32 v32, 0x80000000, v32
	v_xor_b32_e32 v34, 0x80000000, v34
	v_xor_b32_e32 v54, 0x80000000, v54
	v_xor_b32_e32 v56, 0x80000000, v56
	v_add_co_ci_u32_e32 v88, vcc_lo, 0, v88, vcc_lo
	s_clause 0xf
	global_store_b64 v[57:58], v[4:5], off
	global_store_b64 v[59:60], v[6:7], off offset:2048
	global_store_b64 v[61:62], v[11:12], off
	global_store_b64 v[63:64], v[13:14], off
	;; [unrolled: 1-line block ×14, first 2 shown]
	s_clause 0xf
	global_load_u8 v5, v[42:43], off
	global_load_u8 v6, v[42:43], off offset:32
	global_load_u8 v7, v[42:43], off offset:64
	;; [unrolled: 1-line block ×15, first 2 shown]
	s_waitcnt vmcnt(0)
	s_waitcnt_vscnt null, 0x0
	s_barrier
	buffer_gl0_inv
	v_mov_b32_e32 v2, 0
	ds_store_b8 v0, v5 offset:2048
	ds_store_b8 v36, v6 offset:2048
	;; [unrolled: 1-line block ×16, first 2 shown]
	v_mov_b32_e32 v4, v2
	s_waitcnt lgkmcnt(0)
	s_barrier
	buffer_gl0_inv
	ds_load_b64 v[5:6], v9
	ds_load_b64 v[11:12], v101
	;; [unrolled: 1-line block ×4, first 2 shown]
	ds_load_u8 v0, v1 offset:2048
	ds_load_u8 v7, v1 offset:2304
	;; [unrolled: 1-line block ×8, first 2 shown]
	ds_load_b64 v[17:18], v104
	ds_load_b64 v[19:20], v105
	;; [unrolled: 1-line block ×8, first 2 shown]
	ds_load_u8 v46, v1 offset:4096
	ds_load_u8 v47, v1 offset:4352
	;; [unrolled: 1-line block ×8, first 2 shown]
	ds_load_b64 v[33:34], v112
	ds_load_b64 v[35:36], v113
	;; [unrolled: 1-line block ×4, first 2 shown]
	s_waitcnt lgkmcnt(31)
	v_add_co_u32 v5, vcc_lo, s42, v5
	v_add_co_ci_u32_e32 v6, vcc_lo, s43, v6, vcc_lo
	s_waitcnt lgkmcnt(30)
	v_add_co_u32 v11, vcc_lo, s42, v11
	v_add_co_ci_u32_e32 v12, vcc_lo, s43, v12, vcc_lo
	;; [unrolled: 3-line block ×16, first 2 shown]
	v_add_co_u32 v5, vcc_lo, v5, v1
	v_add_co_ci_u32_e32 v6, vcc_lo, 0, v6, vcc_lo
	v_add_co_u32 v11, vcc_lo, v11, v1
	v_add_co_ci_u32_e32 v12, vcc_lo, 0, v12, vcc_lo
	;; [unrolled: 2-line block ×16, first 2 shown]
	s_clause 0xf
	global_store_b8 v[5:6], v0, off
	global_store_b8 v[11:12], v7, off offset:256
	global_store_b8 v[13:14], v9, off offset:512
	;; [unrolled: 1-line block ×15, first 2 shown]
.LBB24_214:
	s_and_b32 vcc_lo, exec_lo, s2
	s_cbranch_vccnz .LBB24_216
; %bb.215:
	s_nop 0
	s_sendmsg sendmsg(MSG_DEALLOC_VGPRS)
	s_endpgm
.LBB24_216:
	ds_load_b64 v[5:6], v8
	v_lshlrev_b64 v[0:1], 3, v[1:2]
	v_add_co_u32 v2, vcc_lo, v3, v10
	v_add_co_ci_u32_e32 v3, vcc_lo, 0, v4, vcc_lo
	s_delay_alu instid0(VALU_DEP_3) | instskip(NEXT) | instid1(VALU_DEP_4)
	v_add_co_u32 v0, vcc_lo, s46, v0
	v_add_co_ci_u32_e32 v1, vcc_lo, s47, v1, vcc_lo
	s_waitcnt lgkmcnt(0)
	v_add_co_u32 v2, vcc_lo, v2, v5
	v_add_co_ci_u32_e32 v3, vcc_lo, v3, v6, vcc_lo
	global_store_b64 v[0:1], v[2:3], off
	s_nop 0
	s_sendmsg sendmsg(MSG_DEALLOC_VGPRS)
	s_endpgm
.LBB24_217:
	global_load_u8 v7, v[5:6], off
	s_or_b32 exec_lo, exec_lo, s35
                                        ; implicit-def: $vgpr9
	s_and_saveexec_b32 s35, s2
	s_cbranch_execz .LBB24_115
.LBB24_218:
	global_load_u8 v9, v[5:6], off offset:32
	s_or_b32 exec_lo, exec_lo, s35
                                        ; implicit-def: $vgpr11
	s_and_saveexec_b32 s2, s3
	s_cbranch_execz .LBB24_116
.LBB24_219:
	global_load_u8 v11, v[5:6], off offset:64
	s_or_b32 exec_lo, exec_lo, s2
                                        ; implicit-def: $vgpr12
	s_and_saveexec_b32 s2, s4
	s_cbranch_execz .LBB24_117
.LBB24_220:
	global_load_u8 v12, v[5:6], off offset:96
	s_or_b32 exec_lo, exec_lo, s2
                                        ; implicit-def: $vgpr13
	s_and_saveexec_b32 s2, s5
	s_cbranch_execz .LBB24_118
.LBB24_221:
	global_load_u8 v13, v[5:6], off offset:128
	s_or_b32 exec_lo, exec_lo, s2
                                        ; implicit-def: $vgpr14
	s_and_saveexec_b32 s2, s6
	s_cbranch_execz .LBB24_119
.LBB24_222:
	global_load_u8 v14, v[5:6], off offset:160
	s_or_b32 exec_lo, exec_lo, s2
                                        ; implicit-def: $vgpr15
	s_and_saveexec_b32 s2, s7
	s_cbranch_execz .LBB24_120
.LBB24_223:
	global_load_u8 v15, v[5:6], off offset:192
	s_or_b32 exec_lo, exec_lo, s2
                                        ; implicit-def: $vgpr16
	s_and_saveexec_b32 s2, s8
	s_cbranch_execz .LBB24_121
.LBB24_224:
	global_load_u8 v16, v[5:6], off offset:224
	s_or_b32 exec_lo, exec_lo, s2
                                        ; implicit-def: $vgpr17
	s_and_saveexec_b32 s2, s9
	s_cbranch_execz .LBB24_122
.LBB24_225:
	global_load_u8 v17, v[5:6], off offset:256
	s_or_b32 exec_lo, exec_lo, s2
                                        ; implicit-def: $vgpr18
	s_and_saveexec_b32 s2, s10
	s_cbranch_execz .LBB24_123
.LBB24_226:
	global_load_u8 v18, v[5:6], off offset:288
	s_or_b32 exec_lo, exec_lo, s2
                                        ; implicit-def: $vgpr19
	s_and_saveexec_b32 s2, s11
	s_cbranch_execz .LBB24_124
.LBB24_227:
	global_load_u8 v19, v[5:6], off offset:320
	s_or_b32 exec_lo, exec_lo, s2
                                        ; implicit-def: $vgpr22
	s_and_saveexec_b32 s2, s12
	s_cbranch_execz .LBB24_125
.LBB24_228:
	global_load_u8 v22, v[5:6], off offset:352
	s_or_b32 exec_lo, exec_lo, s2
                                        ; implicit-def: $vgpr25
	s_and_saveexec_b32 s2, s13
	s_cbranch_execz .LBB24_126
.LBB24_229:
	global_load_u8 v25, v[5:6], off offset:384
	s_or_b32 exec_lo, exec_lo, s2
                                        ; implicit-def: $vgpr29
	s_and_saveexec_b32 s2, s14
	s_cbranch_execz .LBB24_127
.LBB24_230:
	global_load_u8 v29, v[5:6], off offset:416
	s_or_b32 exec_lo, exec_lo, s2
                                        ; implicit-def: $vgpr33
	s_and_saveexec_b32 s2, s16
	s_cbranch_execz .LBB24_128
.LBB24_231:
	global_load_u8 v33, v[5:6], off offset:448
	s_or_b32 exec_lo, exec_lo, s2
                                        ; implicit-def: $vgpr54
	s_and_saveexec_b32 s2, s17
	s_cbranch_execz .LBB24_129
.LBB24_232:
	global_load_u8 v54, v[5:6], off offset:480
	s_or_b32 exec_lo, exec_lo, s2
                                        ; implicit-def: $vgpr55
	s_and_saveexec_b32 s2, s18
	s_cbranch_execz .LBB24_130
.LBB24_233:
	ds_load_b64 v[5:6], v8 offset:2048
	s_waitcnt lgkmcnt(0)
	v_lshrrev_b64 v[5:6], s48, v[5:6]
	s_delay_alu instid0(VALU_DEP_1)
	v_and_b32_e32 v55, s55, v5
	s_or_b32 exec_lo, exec_lo, s2
                                        ; implicit-def: $vgpr43
	s_and_saveexec_b32 s2, s19
	s_cbranch_execz .LBB24_131
.LBB24_234:
	v_lshlrev_b32_e32 v5, 3, v1
	ds_load_b64 v[5:6], v5 offset:4096
	s_waitcnt lgkmcnt(0)
	v_lshrrev_b64 v[5:6], s48, v[5:6]
	s_delay_alu instid0(VALU_DEP_1)
	v_and_b32_e32 v43, s55, v5
	s_or_b32 exec_lo, exec_lo, s2
                                        ; implicit-def: $vgpr35
	s_and_saveexec_b32 s2, s20
	s_cbranch_execz .LBB24_132
.LBB24_235:
	v_lshlrev_b32_e32 v5, 3, v1
	ds_load_b64 v[5:6], v5 offset:6144
	s_waitcnt lgkmcnt(0)
	v_lshrrev_b64 v[5:6], s48, v[5:6]
	s_delay_alu instid0(VALU_DEP_1)
	v_and_b32_e32 v35, s55, v5
	s_or_b32 exec_lo, exec_lo, s2
                                        ; implicit-def: $vgpr34
	s_and_saveexec_b32 s2, s21
	s_cbranch_execz .LBB24_133
.LBB24_236:
	v_lshlrev_b32_e32 v5, 3, v1
	ds_load_b64 v[5:6], v5 offset:8192
	s_waitcnt lgkmcnt(0)
	v_lshrrev_b64 v[5:6], s48, v[5:6]
	s_delay_alu instid0(VALU_DEP_1)
	v_and_b32_e32 v34, s55, v5
	s_or_b32 exec_lo, exec_lo, s2
                                        ; implicit-def: $vgpr32
	s_and_saveexec_b32 s2, s22
	s_cbranch_execz .LBB24_134
.LBB24_237:
	v_lshlrev_b32_e32 v5, 3, v1
	ds_load_b64 v[5:6], v5 offset:10240
	s_waitcnt lgkmcnt(0)
	v_lshrrev_b64 v[5:6], s48, v[5:6]
	s_delay_alu instid0(VALU_DEP_1)
	v_and_b32_e32 v32, s55, v5
	s_or_b32 exec_lo, exec_lo, s2
                                        ; implicit-def: $vgpr31
	s_and_saveexec_b32 s2, s23
	s_cbranch_execz .LBB24_135
.LBB24_238:
	v_lshlrev_b32_e32 v5, 3, v1
	ds_load_b64 v[5:6], v5 offset:12288
	s_waitcnt lgkmcnt(0)
	v_lshrrev_b64 v[5:6], s48, v[5:6]
	s_delay_alu instid0(VALU_DEP_1)
	v_and_b32_e32 v31, s55, v5
	s_or_b32 exec_lo, exec_lo, s2
                                        ; implicit-def: $vgpr30
	s_and_saveexec_b32 s2, s24
	s_cbranch_execz .LBB24_136
.LBB24_239:
	v_lshlrev_b32_e32 v5, 3, v1
	ds_load_b64 v[5:6], v5 offset:14336
	s_waitcnt lgkmcnt(0)
	v_lshrrev_b64 v[5:6], s48, v[5:6]
	s_delay_alu instid0(VALU_DEP_1)
	v_and_b32_e32 v30, s55, v5
	s_or_b32 exec_lo, exec_lo, s2
                                        ; implicit-def: $vgpr28
	s_and_saveexec_b32 s2, s25
	s_cbranch_execz .LBB24_137
.LBB24_240:
	v_lshlrev_b32_e32 v5, 3, v1
	ds_load_b64 v[5:6], v5 offset:16384
	s_waitcnt lgkmcnt(0)
	v_lshrrev_b64 v[5:6], s48, v[5:6]
	s_delay_alu instid0(VALU_DEP_1)
	v_and_b32_e32 v28, s55, v5
	s_or_b32 exec_lo, exec_lo, s2
                                        ; implicit-def: $vgpr27
	s_and_saveexec_b32 s2, s26
	s_cbranch_execz .LBB24_138
.LBB24_241:
	v_lshlrev_b32_e32 v5, 3, v1
	ds_load_b64 v[5:6], v5 offset:18432
	s_waitcnt lgkmcnt(0)
	v_lshrrev_b64 v[5:6], s48, v[5:6]
	s_delay_alu instid0(VALU_DEP_1)
	v_and_b32_e32 v27, s55, v5
	s_or_b32 exec_lo, exec_lo, s2
                                        ; implicit-def: $vgpr26
	s_and_saveexec_b32 s2, s27
	s_cbranch_execz .LBB24_139
.LBB24_242:
	v_lshlrev_b32_e32 v5, 3, v1
	ds_load_b64 v[5:6], v5 offset:20480
	s_waitcnt lgkmcnt(0)
	v_lshrrev_b64 v[5:6], s48, v[5:6]
	s_delay_alu instid0(VALU_DEP_1)
	v_and_b32_e32 v26, s55, v5
	s_or_b32 exec_lo, exec_lo, s2
                                        ; implicit-def: $vgpr24
	s_and_saveexec_b32 s2, s28
	s_cbranch_execz .LBB24_140
.LBB24_243:
	v_lshlrev_b32_e32 v5, 3, v1
	ds_load_b64 v[5:6], v5 offset:22528
	s_waitcnt lgkmcnt(0)
	v_lshrrev_b64 v[5:6], s48, v[5:6]
	s_delay_alu instid0(VALU_DEP_1)
	v_and_b32_e32 v24, s55, v5
	s_or_b32 exec_lo, exec_lo, s2
                                        ; implicit-def: $vgpr23
	s_and_saveexec_b32 s2, s29
	s_cbranch_execz .LBB24_141
.LBB24_244:
	v_lshlrev_b32_e32 v5, 3, v1
	ds_load_b64 v[5:6], v5 offset:24576
	s_waitcnt lgkmcnt(0)
	v_lshrrev_b64 v[5:6], s48, v[5:6]
	s_delay_alu instid0(VALU_DEP_1)
	v_and_b32_e32 v23, s55, v5
	s_or_b32 exec_lo, exec_lo, s2
                                        ; implicit-def: $vgpr21
	s_and_saveexec_b32 s2, s30
	s_cbranch_execz .LBB24_142
.LBB24_245:
	v_lshlrev_b32_e32 v5, 3, v1
	ds_load_b64 v[5:6], v5 offset:26624
	s_waitcnt lgkmcnt(0)
	v_lshrrev_b64 v[5:6], s48, v[5:6]
	s_delay_alu instid0(VALU_DEP_1)
	v_and_b32_e32 v21, s55, v5
	s_or_b32 exec_lo, exec_lo, s2
                                        ; implicit-def: $vgpr20
	s_and_saveexec_b32 s2, s31
	s_cbranch_execz .LBB24_143
.LBB24_246:
	v_lshlrev_b32_e32 v5, 3, v1
	ds_load_b64 v[5:6], v5 offset:28672
	s_waitcnt lgkmcnt(0)
	v_lshrrev_b64 v[5:6], s48, v[5:6]
	s_delay_alu instid0(VALU_DEP_1)
	v_and_b32_e32 v20, s55, v5
	s_or_b32 exec_lo, exec_lo, s2
                                        ; implicit-def: $vgpr6
	s_and_saveexec_b32 s2, s33
	s_cbranch_execz .LBB24_144
.LBB24_247:
	v_lshlrev_b32_e32 v5, 3, v1
	ds_load_b64 v[5:6], v5 offset:30720
	s_waitcnt lgkmcnt(0)
	v_lshrrev_b64 v[5:6], s48, v[5:6]
	s_delay_alu instid0(VALU_DEP_1)
	v_and_b32_e32 v6, s55, v5
	s_or_b32 exec_lo, exec_lo, s2
                                        ; implicit-def: $vgpr5
	s_and_saveexec_b32 s2, s34
	s_cbranch_execnz .LBB24_145
	s_branch .LBB24_146
.LBB24_248:
	v_lshlrev_b32_e32 v7, 3, v55
	ds_load_b64 v[11:12], v7
	ds_load_u8 v7, v1 offset:2048
	s_waitcnt lgkmcnt(1)
	v_add_co_u32 v9, vcc_lo, s42, v11
	v_add_co_ci_u32_e32 v12, vcc_lo, s43, v12, vcc_lo
	s_delay_alu instid0(VALU_DEP_2) | instskip(NEXT) | instid1(VALU_DEP_2)
	v_add_co_u32 v11, vcc_lo, v9, v1
	v_add_co_ci_u32_e32 v12, vcc_lo, 0, v12, vcc_lo
	s_waitcnt lgkmcnt(0)
	global_store_b8 v[11:12], v7, off
	s_or_b32 exec_lo, exec_lo, s2
	s_and_saveexec_b32 s2, s19
	s_cbranch_execz .LBB24_148
.LBB24_249:
	v_lshlrev_b32_e32 v7, 3, v43
	ds_load_b64 v[11:12], v7
	ds_load_u8 v7, v1 offset:2304
	s_waitcnt lgkmcnt(1)
	v_add_co_u32 v9, vcc_lo, s42, v11
	v_add_co_ci_u32_e32 v12, vcc_lo, s43, v12, vcc_lo
	s_delay_alu instid0(VALU_DEP_2) | instskip(NEXT) | instid1(VALU_DEP_2)
	v_add_co_u32 v11, vcc_lo, v9, v1
	v_add_co_ci_u32_e32 v12, vcc_lo, 0, v12, vcc_lo
	s_waitcnt lgkmcnt(0)
	global_store_b8 v[11:12], v7, off offset:256
	s_or_b32 exec_lo, exec_lo, s2
	s_and_saveexec_b32 s2, s20
	s_cbranch_execz .LBB24_149
.LBB24_250:
	v_lshlrev_b32_e32 v7, 3, v35
	ds_load_b64 v[11:12], v7
	ds_load_u8 v7, v1 offset:2560
	s_waitcnt lgkmcnt(1)
	v_add_co_u32 v9, vcc_lo, s42, v11
	v_add_co_ci_u32_e32 v12, vcc_lo, s43, v12, vcc_lo
	s_delay_alu instid0(VALU_DEP_2) | instskip(NEXT) | instid1(VALU_DEP_2)
	v_add_co_u32 v11, vcc_lo, v9, v1
	v_add_co_ci_u32_e32 v12, vcc_lo, 0, v12, vcc_lo
	s_waitcnt lgkmcnt(0)
	global_store_b8 v[11:12], v7, off offset:512
	s_or_b32 exec_lo, exec_lo, s2
	s_and_saveexec_b32 s2, s21
	s_cbranch_execz .LBB24_150
.LBB24_251:
	v_lshlrev_b32_e32 v7, 3, v34
	ds_load_b64 v[11:12], v7
	ds_load_u8 v7, v1 offset:2816
	s_waitcnt lgkmcnt(1)
	v_add_co_u32 v9, vcc_lo, s42, v11
	v_add_co_ci_u32_e32 v12, vcc_lo, s43, v12, vcc_lo
	s_delay_alu instid0(VALU_DEP_2) | instskip(NEXT) | instid1(VALU_DEP_2)
	v_add_co_u32 v11, vcc_lo, v9, v1
	v_add_co_ci_u32_e32 v12, vcc_lo, 0, v12, vcc_lo
	s_waitcnt lgkmcnt(0)
	global_store_b8 v[11:12], v7, off offset:768
	s_or_b32 exec_lo, exec_lo, s2
	s_and_saveexec_b32 s2, s22
	s_cbranch_execz .LBB24_151
.LBB24_252:
	v_lshlrev_b32_e32 v7, 3, v32
	ds_load_b64 v[11:12], v7
	ds_load_u8 v7, v1 offset:3072
	s_waitcnt lgkmcnt(1)
	v_add_co_u32 v9, vcc_lo, s42, v11
	v_add_co_ci_u32_e32 v12, vcc_lo, s43, v12, vcc_lo
	s_delay_alu instid0(VALU_DEP_2) | instskip(NEXT) | instid1(VALU_DEP_2)
	v_add_co_u32 v11, vcc_lo, v9, v1
	v_add_co_ci_u32_e32 v12, vcc_lo, 0, v12, vcc_lo
	s_waitcnt lgkmcnt(0)
	global_store_b8 v[11:12], v7, off offset:1024
	s_or_b32 exec_lo, exec_lo, s2
	s_and_saveexec_b32 s2, s23
	s_cbranch_execz .LBB24_152
.LBB24_253:
	v_lshlrev_b32_e32 v7, 3, v31
	ds_load_b64 v[11:12], v7
	ds_load_u8 v7, v1 offset:3328
	s_waitcnt lgkmcnt(1)
	v_add_co_u32 v9, vcc_lo, s42, v11
	v_add_co_ci_u32_e32 v12, vcc_lo, s43, v12, vcc_lo
	s_delay_alu instid0(VALU_DEP_2) | instskip(NEXT) | instid1(VALU_DEP_2)
	v_add_co_u32 v11, vcc_lo, v9, v1
	v_add_co_ci_u32_e32 v12, vcc_lo, 0, v12, vcc_lo
	s_waitcnt lgkmcnt(0)
	global_store_b8 v[11:12], v7, off offset:1280
	s_or_b32 exec_lo, exec_lo, s2
	s_and_saveexec_b32 s2, s24
	s_cbranch_execz .LBB24_153
.LBB24_254:
	v_lshlrev_b32_e32 v7, 3, v30
	ds_load_b64 v[11:12], v7
	ds_load_u8 v7, v1 offset:3584
	s_waitcnt lgkmcnt(1)
	v_add_co_u32 v9, vcc_lo, s42, v11
	v_add_co_ci_u32_e32 v12, vcc_lo, s43, v12, vcc_lo
	s_delay_alu instid0(VALU_DEP_2) | instskip(NEXT) | instid1(VALU_DEP_2)
	v_add_co_u32 v11, vcc_lo, v9, v1
	v_add_co_ci_u32_e32 v12, vcc_lo, 0, v12, vcc_lo
	s_waitcnt lgkmcnt(0)
	global_store_b8 v[11:12], v7, off offset:1536
	s_or_b32 exec_lo, exec_lo, s2
	s_and_saveexec_b32 s2, s25
	s_cbranch_execz .LBB24_154
.LBB24_255:
	v_lshlrev_b32_e32 v7, 3, v28
	ds_load_b64 v[11:12], v7
	ds_load_u8 v7, v1 offset:3840
	s_waitcnt lgkmcnt(1)
	v_add_co_u32 v9, vcc_lo, s42, v11
	v_add_co_ci_u32_e32 v12, vcc_lo, s43, v12, vcc_lo
	s_delay_alu instid0(VALU_DEP_2) | instskip(NEXT) | instid1(VALU_DEP_2)
	v_add_co_u32 v11, vcc_lo, v9, v1
	v_add_co_ci_u32_e32 v12, vcc_lo, 0, v12, vcc_lo
	s_waitcnt lgkmcnt(0)
	global_store_b8 v[11:12], v7, off offset:1792
	s_or_b32 exec_lo, exec_lo, s2
	s_and_saveexec_b32 s2, s26
	s_cbranch_execz .LBB24_155
.LBB24_256:
	v_lshlrev_b32_e32 v7, 3, v27
	ds_load_b64 v[11:12], v7
	ds_load_u8 v7, v1 offset:4096
	s_waitcnt lgkmcnt(1)
	v_add_co_u32 v9, vcc_lo, s42, v11
	v_add_co_ci_u32_e32 v12, vcc_lo, s43, v12, vcc_lo
	s_delay_alu instid0(VALU_DEP_2) | instskip(NEXT) | instid1(VALU_DEP_2)
	v_add_co_u32 v11, vcc_lo, v9, v1
	v_add_co_ci_u32_e32 v12, vcc_lo, 0, v12, vcc_lo
	s_waitcnt lgkmcnt(0)
	global_store_b8 v[11:12], v7, off offset:2048
	s_or_b32 exec_lo, exec_lo, s2
	s_and_saveexec_b32 s2, s27
	s_cbranch_execz .LBB24_156
.LBB24_257:
	v_lshlrev_b32_e32 v7, 3, v26
	ds_load_b64 v[11:12], v7
	ds_load_u8 v7, v1 offset:4352
	s_waitcnt lgkmcnt(1)
	v_add_co_u32 v9, vcc_lo, s42, v11
	v_add_co_ci_u32_e32 v12, vcc_lo, s43, v12, vcc_lo
	s_delay_alu instid0(VALU_DEP_2) | instskip(NEXT) | instid1(VALU_DEP_2)
	v_add_co_u32 v11, vcc_lo, v9, v1
	v_add_co_ci_u32_e32 v12, vcc_lo, 0, v12, vcc_lo
	s_waitcnt lgkmcnt(0)
	global_store_b8 v[11:12], v7, off offset:2304
	s_or_b32 exec_lo, exec_lo, s2
	s_and_saveexec_b32 s2, s28
	s_cbranch_execz .LBB24_157
.LBB24_258:
	v_lshlrev_b32_e32 v7, 3, v24
	ds_load_b64 v[11:12], v7
	ds_load_u8 v7, v1 offset:4608
	s_waitcnt lgkmcnt(1)
	v_add_co_u32 v9, vcc_lo, s42, v11
	v_add_co_ci_u32_e32 v12, vcc_lo, s43, v12, vcc_lo
	s_delay_alu instid0(VALU_DEP_2) | instskip(NEXT) | instid1(VALU_DEP_2)
	v_add_co_u32 v11, vcc_lo, v9, v1
	v_add_co_ci_u32_e32 v12, vcc_lo, 0, v12, vcc_lo
	s_waitcnt lgkmcnt(0)
	global_store_b8 v[11:12], v7, off offset:2560
	s_or_b32 exec_lo, exec_lo, s2
	s_and_saveexec_b32 s2, s29
	s_cbranch_execz .LBB24_158
.LBB24_259:
	v_lshlrev_b32_e32 v7, 3, v23
	ds_load_b64 v[11:12], v7
	ds_load_u8 v7, v1 offset:4864
	s_waitcnt lgkmcnt(1)
	v_add_co_u32 v9, vcc_lo, s42, v11
	v_add_co_ci_u32_e32 v12, vcc_lo, s43, v12, vcc_lo
	s_delay_alu instid0(VALU_DEP_2) | instskip(NEXT) | instid1(VALU_DEP_2)
	v_add_co_u32 v11, vcc_lo, v9, v1
	v_add_co_ci_u32_e32 v12, vcc_lo, 0, v12, vcc_lo
	s_waitcnt lgkmcnt(0)
	global_store_b8 v[11:12], v7, off offset:2816
	s_or_b32 exec_lo, exec_lo, s2
	s_and_saveexec_b32 s2, s30
	s_cbranch_execz .LBB24_159
.LBB24_260:
	v_lshlrev_b32_e32 v7, 3, v21
	ds_load_b64 v[11:12], v7
	ds_load_u8 v7, v1 offset:5120
	s_waitcnt lgkmcnt(1)
	v_add_co_u32 v9, vcc_lo, s42, v11
	v_add_co_ci_u32_e32 v12, vcc_lo, s43, v12, vcc_lo
	s_delay_alu instid0(VALU_DEP_2) | instskip(NEXT) | instid1(VALU_DEP_2)
	v_add_co_u32 v11, vcc_lo, v9, v1
	v_add_co_ci_u32_e32 v12, vcc_lo, 0, v12, vcc_lo
	s_waitcnt lgkmcnt(0)
	global_store_b8 v[11:12], v7, off offset:3072
	s_or_b32 exec_lo, exec_lo, s2
	s_and_saveexec_b32 s2, s31
	s_cbranch_execz .LBB24_160
.LBB24_261:
	v_lshlrev_b32_e32 v7, 3, v20
	ds_load_b64 v[11:12], v7
	ds_load_u8 v7, v1 offset:5376
	s_waitcnt lgkmcnt(1)
	v_add_co_u32 v9, vcc_lo, s42, v11
	v_add_co_ci_u32_e32 v12, vcc_lo, s43, v12, vcc_lo
	s_delay_alu instid0(VALU_DEP_2) | instskip(NEXT) | instid1(VALU_DEP_2)
	v_add_co_u32 v11, vcc_lo, v9, v1
	v_add_co_ci_u32_e32 v12, vcc_lo, 0, v12, vcc_lo
	s_waitcnt lgkmcnt(0)
	global_store_b8 v[11:12], v7, off offset:3328
	s_or_b32 exec_lo, exec_lo, s2
	s_and_saveexec_b32 s2, s33
	s_cbranch_execz .LBB24_161
.LBB24_262:
	v_lshlrev_b32_e32 v6, 3, v6
	ds_load_b64 v[6:7], v6
	ds_load_u8 v9, v1 offset:5632
	s_waitcnt lgkmcnt(1)
	v_add_co_u32 v6, vcc_lo, s42, v6
	v_add_co_ci_u32_e32 v7, vcc_lo, s43, v7, vcc_lo
	s_delay_alu instid0(VALU_DEP_2) | instskip(NEXT) | instid1(VALU_DEP_2)
	v_add_co_u32 v6, vcc_lo, v6, v1
	v_add_co_ci_u32_e32 v7, vcc_lo, 0, v7, vcc_lo
	s_waitcnt lgkmcnt(0)
	global_store_b8 v[6:7], v9, off offset:3584
	s_or_b32 exec_lo, exec_lo, s2
	s_and_saveexec_b32 s2, s34
	s_cbranch_execnz .LBB24_162
	s_branch .LBB24_163
	.section	.rodata,"a",@progbits
	.p2align	6, 0x0
	.amdhsa_kernel _ZN7rocprim17ROCPRIM_304000_NS6detail25onesweep_iteration_kernelINS1_34wrapped_radix_sort_onesweep_configINS0_14default_configElN2at4cuda3cub6detail10OpaqueTypeILi1EEEEELb0EPKlPlPKSA_PSA_mNS0_19identity_decomposerEEEvT1_T2_T3_T4_jPT5_SO_PNS1_23onesweep_lookback_stateET6_jjj
		.amdhsa_group_segment_fixed_size 34816
		.amdhsa_private_segment_fixed_size 0
		.amdhsa_kernarg_size 336
		.amdhsa_user_sgpr_count 15
		.amdhsa_user_sgpr_dispatch_ptr 0
		.amdhsa_user_sgpr_queue_ptr 0
		.amdhsa_user_sgpr_kernarg_segment_ptr 1
		.amdhsa_user_sgpr_dispatch_id 0
		.amdhsa_user_sgpr_private_segment_size 0
		.amdhsa_wavefront_size32 1
		.amdhsa_uses_dynamic_stack 0
		.amdhsa_enable_private_segment 0
		.amdhsa_system_sgpr_workgroup_id_x 1
		.amdhsa_system_sgpr_workgroup_id_y 0
		.amdhsa_system_sgpr_workgroup_id_z 0
		.amdhsa_system_sgpr_workgroup_info 0
		.amdhsa_system_vgpr_workitem_id 2
		.amdhsa_next_free_vgpr 116
		.amdhsa_next_free_sgpr 57
		.amdhsa_reserve_vcc 1
		.amdhsa_float_round_mode_32 0
		.amdhsa_float_round_mode_16_64 0
		.amdhsa_float_denorm_mode_32 3
		.amdhsa_float_denorm_mode_16_64 3
		.amdhsa_dx10_clamp 1
		.amdhsa_ieee_mode 1
		.amdhsa_fp16_overflow 0
		.amdhsa_workgroup_processor_mode 1
		.amdhsa_memory_ordered 1
		.amdhsa_forward_progress 0
		.amdhsa_shared_vgpr_count 0
		.amdhsa_exception_fp_ieee_invalid_op 0
		.amdhsa_exception_fp_denorm_src 0
		.amdhsa_exception_fp_ieee_div_zero 0
		.amdhsa_exception_fp_ieee_overflow 0
		.amdhsa_exception_fp_ieee_underflow 0
		.amdhsa_exception_fp_ieee_inexact 0
		.amdhsa_exception_int_div_zero 0
	.end_amdhsa_kernel
	.section	.text._ZN7rocprim17ROCPRIM_304000_NS6detail25onesweep_iteration_kernelINS1_34wrapped_radix_sort_onesweep_configINS0_14default_configElN2at4cuda3cub6detail10OpaqueTypeILi1EEEEELb0EPKlPlPKSA_PSA_mNS0_19identity_decomposerEEEvT1_T2_T3_T4_jPT5_SO_PNS1_23onesweep_lookback_stateET6_jjj,"axG",@progbits,_ZN7rocprim17ROCPRIM_304000_NS6detail25onesweep_iteration_kernelINS1_34wrapped_radix_sort_onesweep_configINS0_14default_configElN2at4cuda3cub6detail10OpaqueTypeILi1EEEEELb0EPKlPlPKSA_PSA_mNS0_19identity_decomposerEEEvT1_T2_T3_T4_jPT5_SO_PNS1_23onesweep_lookback_stateET6_jjj,comdat
.Lfunc_end24:
	.size	_ZN7rocprim17ROCPRIM_304000_NS6detail25onesweep_iteration_kernelINS1_34wrapped_radix_sort_onesweep_configINS0_14default_configElN2at4cuda3cub6detail10OpaqueTypeILi1EEEEELb0EPKlPlPKSA_PSA_mNS0_19identity_decomposerEEEvT1_T2_T3_T4_jPT5_SO_PNS1_23onesweep_lookback_stateET6_jjj, .Lfunc_end24-_ZN7rocprim17ROCPRIM_304000_NS6detail25onesweep_iteration_kernelINS1_34wrapped_radix_sort_onesweep_configINS0_14default_configElN2at4cuda3cub6detail10OpaqueTypeILi1EEEEELb0EPKlPlPKSA_PSA_mNS0_19identity_decomposerEEEvT1_T2_T3_T4_jPT5_SO_PNS1_23onesweep_lookback_stateET6_jjj
                                        ; -- End function
	.section	.AMDGPU.csdata,"",@progbits
; Kernel info:
; codeLenInByte = 24128
; NumSgprs: 59
; NumVgprs: 116
; ScratchSize: 0
; MemoryBound: 0
; FloatMode: 240
; IeeeMode: 1
; LDSByteSize: 34816 bytes/workgroup (compile time only)
; SGPRBlocks: 7
; VGPRBlocks: 14
; NumSGPRsForWavesPerEU: 59
; NumVGPRsForWavesPerEU: 116
; Occupancy: 6
; WaveLimiterHint : 1
; COMPUTE_PGM_RSRC2:SCRATCH_EN: 0
; COMPUTE_PGM_RSRC2:USER_SGPR: 15
; COMPUTE_PGM_RSRC2:TRAP_HANDLER: 0
; COMPUTE_PGM_RSRC2:TGID_X_EN: 1
; COMPUTE_PGM_RSRC2:TGID_Y_EN: 0
; COMPUTE_PGM_RSRC2:TGID_Z_EN: 0
; COMPUTE_PGM_RSRC2:TIDIG_COMP_CNT: 2
	.section	.text._ZN7rocprim17ROCPRIM_304000_NS6detail25onesweep_iteration_kernelINS1_34wrapped_radix_sort_onesweep_configINS0_14default_configElN2at4cuda3cub6detail10OpaqueTypeILi1EEEEELb0EPlSC_PSA_SD_mNS0_19identity_decomposerEEEvT1_T2_T3_T4_jPT5_SK_PNS1_23onesweep_lookback_stateET6_jjj,"axG",@progbits,_ZN7rocprim17ROCPRIM_304000_NS6detail25onesweep_iteration_kernelINS1_34wrapped_radix_sort_onesweep_configINS0_14default_configElN2at4cuda3cub6detail10OpaqueTypeILi1EEEEELb0EPlSC_PSA_SD_mNS0_19identity_decomposerEEEvT1_T2_T3_T4_jPT5_SK_PNS1_23onesweep_lookback_stateET6_jjj,comdat
	.protected	_ZN7rocprim17ROCPRIM_304000_NS6detail25onesweep_iteration_kernelINS1_34wrapped_radix_sort_onesweep_configINS0_14default_configElN2at4cuda3cub6detail10OpaqueTypeILi1EEEEELb0EPlSC_PSA_SD_mNS0_19identity_decomposerEEEvT1_T2_T3_T4_jPT5_SK_PNS1_23onesweep_lookback_stateET6_jjj ; -- Begin function _ZN7rocprim17ROCPRIM_304000_NS6detail25onesweep_iteration_kernelINS1_34wrapped_radix_sort_onesweep_configINS0_14default_configElN2at4cuda3cub6detail10OpaqueTypeILi1EEEEELb0EPlSC_PSA_SD_mNS0_19identity_decomposerEEEvT1_T2_T3_T4_jPT5_SK_PNS1_23onesweep_lookback_stateET6_jjj
	.globl	_ZN7rocprim17ROCPRIM_304000_NS6detail25onesweep_iteration_kernelINS1_34wrapped_radix_sort_onesweep_configINS0_14default_configElN2at4cuda3cub6detail10OpaqueTypeILi1EEEEELb0EPlSC_PSA_SD_mNS0_19identity_decomposerEEEvT1_T2_T3_T4_jPT5_SK_PNS1_23onesweep_lookback_stateET6_jjj
	.p2align	8
	.type	_ZN7rocprim17ROCPRIM_304000_NS6detail25onesweep_iteration_kernelINS1_34wrapped_radix_sort_onesweep_configINS0_14default_configElN2at4cuda3cub6detail10OpaqueTypeILi1EEEEELb0EPlSC_PSA_SD_mNS0_19identity_decomposerEEEvT1_T2_T3_T4_jPT5_SK_PNS1_23onesweep_lookback_stateET6_jjj,@function
_ZN7rocprim17ROCPRIM_304000_NS6detail25onesweep_iteration_kernelINS1_34wrapped_radix_sort_onesweep_configINS0_14default_configElN2at4cuda3cub6detail10OpaqueTypeILi1EEEEELb0EPlSC_PSA_SD_mNS0_19identity_decomposerEEEvT1_T2_T3_T4_jPT5_SK_PNS1_23onesweep_lookback_stateET6_jjj: ; @_ZN7rocprim17ROCPRIM_304000_NS6detail25onesweep_iteration_kernelINS1_34wrapped_radix_sort_onesweep_configINS0_14default_configElN2at4cuda3cub6detail10OpaqueTypeILi1EEEEELb0EPlSC_PSA_SD_mNS0_19identity_decomposerEEEvT1_T2_T3_T4_jPT5_SK_PNS1_23onesweep_lookback_stateET6_jjj
; %bb.0:
	s_clause 0x3
	s_load_b128 s[48:51], s[0:1], 0x44
	s_load_b256 s[36:43], s[0:1], 0x0
	s_load_b128 s[44:47], s[0:1], 0x28
	s_load_b64 s[52:53], s[0:1], 0x38
	v_and_b32_e32 v1, 0x3ff, v0
	v_mbcnt_lo_u32_b32 v42, -1, 0
	s_mov_b32 s54, s15
	s_waitcnt lgkmcnt(0)
	s_cmp_ge_u32 s15, s50
	s_cbranch_scc0 .LBB25_164
; %bb.1:
	s_load_b32 s6, s[0:1], 0x20
	s_mov_b32 s4, -1
	s_brev_b32 s5, -2
	v_lshlrev_b32_e32 v2, 4, v1
	s_lshl_b32 s7, s50, 12
	s_lshl_b32 s50, s15, 12
	s_mov_b32 s51, 0
	s_delay_alu instid0(VALU_DEP_1) | instskip(SKIP_2) | instid1(VALU_DEP_2)
	v_and_b32_e32 v43, 0xe00, v2
	v_lshlrev_b32_e32 v2, 3, v42
	s_lshl_b64 s[2:3], s[50:51], 3
	v_lshlrev_b32_e32 v3, 3, v43
	s_waitcnt lgkmcnt(0)
	s_sub_i32 s35, s6, s7
	s_add_u32 s2, s36, s2
	s_addc_u32 s3, s37, s3
	v_add_co_u32 v2, s2, s2, v2
	s_delay_alu instid0(VALU_DEP_1) | instskip(NEXT) | instid1(VALU_DEP_2)
	v_add_co_ci_u32_e64 v4, null, s3, 0, s2
	v_add_co_u32 v2, s2, v2, v3
	s_delay_alu instid0(VALU_DEP_1) | instskip(SKIP_3) | instid1(VALU_DEP_2)
	v_add_co_ci_u32_e64 v3, s2, 0, v4, s2
	v_mov_b32_e32 v4, s4
	v_or_b32_e32 v34, v42, v43
	v_mov_b32_e32 v5, s5
	v_cmp_gt_u32_e32 vcc_lo, s35, v34
	s_and_saveexec_b32 s2, vcc_lo
	s_cbranch_execz .LBB25_3
; %bb.2:
	global_load_b64 v[4:5], v[2:3], off
.LBB25_3:
	s_or_b32 exec_lo, exec_lo, s2
	v_add_nc_u32_e32 v6, 32, v34
	s_delay_alu instid0(VALU_DEP_1) | instskip(SKIP_1) | instid1(VALU_DEP_2)
	v_cmp_gt_u32_e64 s2, s35, v6
	v_dual_mov_b32 v7, s5 :: v_dual_mov_b32 v6, s4
	s_and_saveexec_b32 s3, s2
	s_cbranch_execz .LBB25_5
; %bb.4:
	global_load_b64 v[6:7], v[2:3], off offset:256
.LBB25_5:
	s_or_b32 exec_lo, exec_lo, s3
	v_add_nc_u32_e32 v8, 64, v34
	s_mov_b32 s6, -1
	s_brev_b32 s7, -2
	s_delay_alu instid0(VALU_DEP_1) | instskip(SKIP_1) | instid1(VALU_DEP_2)
	v_cmp_gt_u32_e64 s3, s35, v8
	v_dual_mov_b32 v9, s7 :: v_dual_mov_b32 v8, s6
	s_and_saveexec_b32 s4, s3
	s_cbranch_execz .LBB25_7
; %bb.6:
	global_load_b64 v[8:9], v[2:3], off offset:512
.LBB25_7:
	s_or_b32 exec_lo, exec_lo, s4
	v_add_nc_u32_e32 v10, 0x60, v34
	s_delay_alu instid0(VALU_DEP_1) | instskip(SKIP_1) | instid1(VALU_DEP_2)
	v_cmp_gt_u32_e64 s4, s35, v10
	v_dual_mov_b32 v11, s7 :: v_dual_mov_b32 v10, s6
	s_and_saveexec_b32 s5, s4
	s_cbranch_execz .LBB25_9
; %bb.8:
	global_load_b64 v[10:11], v[2:3], off offset:768
.LBB25_9:
	s_or_b32 exec_lo, exec_lo, s5
	v_add_nc_u32_e32 v12, 0x80, v34
	s_mov_b32 s8, -1
	s_brev_b32 s9, -2
	s_delay_alu instid0(VALU_DEP_1) | instskip(SKIP_1) | instid1(VALU_DEP_2)
	v_cmp_gt_u32_e64 s5, s35, v12
	v_dual_mov_b32 v13, s9 :: v_dual_mov_b32 v12, s8
	s_and_saveexec_b32 s6, s5
	s_cbranch_execz .LBB25_11
; %bb.10:
	global_load_b64 v[12:13], v[2:3], off offset:1024
.LBB25_11:
	;; [unrolled: 22-line block ×5, first 2 shown]
	s_or_b32 exec_lo, exec_lo, s12
	v_add_nc_u32_e32 v26, 0x160, v34
	s_delay_alu instid0(VALU_DEP_1) | instskip(SKIP_1) | instid1(VALU_DEP_2)
	v_cmp_gt_u32_e64 s12, s35, v26
	v_dual_mov_b32 v27, s17 :: v_dual_mov_b32 v26, s16
	s_and_saveexec_b32 s13, s12
	s_cbranch_execz .LBB25_25
; %bb.24:
	global_load_b64 v[26:27], v[2:3], off offset:2816
.LBB25_25:
	s_or_b32 exec_lo, exec_lo, s13
	v_add_nc_u32_e32 v28, 0x180, v34
	s_delay_alu instid0(VALU_DEP_1) | instskip(SKIP_1) | instid1(VALU_DEP_2)
	v_cmp_gt_u32_e64 s13, s35, v28
	v_dual_mov_b32 v29, s17 :: v_dual_mov_b32 v28, s16
	s_and_saveexec_b32 s14, s13
	s_cbranch_execz .LBB25_27
; %bb.26:
	global_load_b64 v[28:29], v[2:3], off offset:3072
.LBB25_27:
	;; [unrolled: 10-line block ×3, first 2 shown]
	s_or_b32 exec_lo, exec_lo, s16
	v_add_nc_u32_e32 v32, 0x1c0, v34
	s_mov_b32 s18, -1
	s_brev_b32 s19, -2
	s_delay_alu instid0(VALU_DEP_1) | instskip(SKIP_1) | instid1(VALU_DEP_2)
	v_cmp_gt_u32_e64 s16, s35, v32
	v_dual_mov_b32 v33, s19 :: v_dual_mov_b32 v32, s18
	s_and_saveexec_b32 s17, s16
	s_cbranch_execz .LBB25_31
; %bb.30:
	global_load_b64 v[32:33], v[2:3], off offset:3584
.LBB25_31:
	s_or_b32 exec_lo, exec_lo, s17
	v_add_nc_u32_e32 v34, 0x1e0, v34
	s_delay_alu instid0(VALU_DEP_1) | instskip(SKIP_1) | instid1(VALU_DEP_2)
	v_cmp_gt_u32_e64 s17, s35, v34
	v_dual_mov_b32 v35, s19 :: v_dual_mov_b32 v34, s18
	s_and_saveexec_b32 s18, s17
	s_cbranch_execz .LBB25_33
; %bb.32:
	global_load_b64 v[34:35], v[2:3], off offset:3840
.LBB25_33:
	s_or_b32 exec_lo, exec_lo, s18
	s_clause 0x1
	s_load_b32 s18, s[0:1], 0x5c
	s_load_b32 s51, s[0:1], 0x50
	s_add_u32 s19, s0, 0x50
	s_addc_u32 s20, s1, 0
	v_mov_b32_e32 v36, 0
	s_waitcnt vmcnt(0)
	v_xor_b32_e32 v5, 0x80000000, v5
	s_delay_alu instid0(VALU_DEP_1) | instskip(SKIP_4) | instid1(SALU_CYCLE_1)
	v_lshrrev_b64 v[2:3], s48, v[4:5]
	s_waitcnt lgkmcnt(0)
	s_lshr_b32 s21, s18, 16
	s_cmp_lt_u32 s15, s51
	s_cselect_b32 s18, 12, 18
	s_add_u32 s18, s19, s18
	s_addc_u32 s19, s20, 0
	global_load_u16 v37, v36, s[18:19]
	s_lshl_b32 s18, -1, s49
	s_delay_alu instid0(SALU_CYCLE_1) | instskip(NEXT) | instid1(SALU_CYCLE_1)
	s_not_b32 s55, s18
	v_and_b32_e32 v38, s55, v2
	v_bfe_u32 v2, v0, 10, 10
	s_delay_alu instid0(VALU_DEP_2)
	v_and_b32_e32 v3, 1, v38
	v_lshlrev_b32_e32 v39, 30, v38
	v_lshlrev_b32_e32 v40, 29, v38
	;; [unrolled: 1-line block ×4, first 2 shown]
	v_add_co_u32 v3, s18, v3, -1
	s_delay_alu instid0(VALU_DEP_1)
	v_cndmask_b32_e64 v44, 0, 1, s18
	v_not_b32_e32 v48, v39
	v_cmp_gt_i32_e64 s19, 0, v39
	v_not_b32_e32 v39, v40
	v_lshlrev_b32_e32 v46, 26, v38
	v_cmp_ne_u32_e64 s18, 0, v44
	v_ashrrev_i32_e32 v48, 31, v48
	v_lshlrev_b32_e32 v47, 25, v38
	v_ashrrev_i32_e32 v39, 31, v39
	v_lshlrev_b32_e32 v44, 24, v38
	v_xor_b32_e32 v3, s18, v3
	v_cmp_gt_i32_e64 s18, 0, v40
	v_not_b32_e32 v40, v41
	v_xor_b32_e32 v48, s19, v48
	v_cmp_gt_i32_e64 s19, 0, v41
	v_and_b32_e32 v3, exec_lo, v3
	v_not_b32_e32 v41, v45
	v_ashrrev_i32_e32 v40, 31, v40
	v_xor_b32_e32 v39, s18, v39
	v_cmp_gt_i32_e64 s18, 0, v45
	v_and_b32_e32 v3, v3, v48
	v_not_b32_e32 v45, v46
	v_ashrrev_i32_e32 v41, 31, v41
	v_xor_b32_e32 v40, s19, v40
	v_cmp_gt_i32_e64 s19, 0, v46
	v_and_b32_e32 v3, v3, v39
	v_not_b32_e32 v39, v47
	v_ashrrev_i32_e32 v45, 31, v45
	v_xor_b32_e32 v41, s18, v41
	v_cmp_gt_i32_e64 s18, 0, v47
	v_and_b32_e32 v3, v3, v40
	v_not_b32_e32 v40, v44
	v_ashrrev_i32_e32 v39, 31, v39
	v_xor_b32_e32 v45, s19, v45
	v_cmp_gt_i32_e64 s19, 0, v44
	v_and_b32_e32 v3, v3, v41
	v_bfe_u32 v41, v0, 20, 10
	v_ashrrev_i32_e32 v40, 31, v40
	v_xor_b32_e32 v39, s18, v39
	v_mul_u32_u24_e32 v44, 9, v1
	v_and_b32_e32 v3, v3, v45
	v_mad_u32_u24 v41, v41, s21, v2
	v_xor_b32_e32 v40, s19, v40
	s_delay_alu instid0(VALU_DEP_4) | instskip(NEXT) | instid1(VALU_DEP_4)
	v_lshlrev_b32_e32 v45, 2, v44
	v_and_b32_e32 v39, v3, v39
	ds_store_2addr_b32 v45, v36, v36 offset0:8 offset1:9
	ds_store_2addr_b32 v45, v36, v36 offset0:10 offset1:11
	;; [unrolled: 1-line block ×4, first 2 shown]
	ds_store_b32 v45, v36 offset:64
	v_lshl_add_u32 v36, v38, 3, v38
	s_waitcnt vmcnt(0) lgkmcnt(0)
	s_barrier
	buffer_gl0_inv
	; wave barrier
	v_mad_u64_u32 v[2:3], null, v41, v37, v[1:2]
	v_and_b32_e32 v3, v39, v40
	s_delay_alu instid0(VALU_DEP_1) | instskip(NEXT) | instid1(VALU_DEP_3)
	v_mbcnt_lo_u32_b32 v44, v3, 0
	v_lshrrev_b32_e32 v2, 5, v2
	v_cmp_ne_u32_e64 s19, 0, v3
	s_delay_alu instid0(VALU_DEP_3) | instskip(NEXT) | instid1(VALU_DEP_3)
	v_cmp_eq_u32_e64 s18, 0, v44
	v_add_lshl_u32 v46, v2, v36, 2
	s_delay_alu instid0(VALU_DEP_2) | instskip(NEXT) | instid1(SALU_CYCLE_1)
	s_and_b32 s19, s19, s18
	s_and_saveexec_b32 s18, s19
	s_cbranch_execz .LBB25_35
; %bb.34:
	v_bcnt_u32_b32 v3, v3, 0
	ds_store_b32 v46, v3 offset:32
.LBB25_35:
	s_or_b32 exec_lo, exec_lo, s18
	v_xor_b32_e32 v7, 0x80000000, v7
	; wave barrier
	s_delay_alu instid0(VALU_DEP_1) | instskip(NEXT) | instid1(VALU_DEP_1)
	v_lshrrev_b64 v[36:37], s48, v[6:7]
	v_and_b32_e32 v3, s55, v36
	s_delay_alu instid0(VALU_DEP_1)
	v_and_b32_e32 v36, 1, v3
	v_lshlrev_b32_e32 v37, 30, v3
	v_lshlrev_b32_e32 v38, 29, v3
	;; [unrolled: 1-line block ×4, first 2 shown]
	v_add_co_u32 v36, s18, v36, -1
	s_delay_alu instid0(VALU_DEP_1)
	v_cndmask_b32_e64 v40, 0, 1, s18
	v_not_b32_e32 v49, v37
	v_cmp_gt_i32_e64 s19, 0, v37
	v_not_b32_e32 v37, v38
	v_lshlrev_b32_e32 v47, 26, v3
	v_cmp_ne_u32_e64 s18, 0, v40
	v_ashrrev_i32_e32 v49, 31, v49
	v_lshlrev_b32_e32 v48, 25, v3
	v_ashrrev_i32_e32 v37, 31, v37
	v_lshlrev_b32_e32 v40, 24, v3
	v_xor_b32_e32 v36, s18, v36
	v_cmp_gt_i32_e64 s18, 0, v38
	v_not_b32_e32 v38, v39
	v_xor_b32_e32 v49, s19, v49
	v_cmp_gt_i32_e64 s19, 0, v39
	v_and_b32_e32 v36, exec_lo, v36
	v_not_b32_e32 v39, v41
	v_ashrrev_i32_e32 v38, 31, v38
	v_xor_b32_e32 v37, s18, v37
	v_cmp_gt_i32_e64 s18, 0, v41
	v_and_b32_e32 v36, v36, v49
	v_not_b32_e32 v41, v47
	v_ashrrev_i32_e32 v39, 31, v39
	v_xor_b32_e32 v38, s19, v38
	v_cmp_gt_i32_e64 s19, 0, v47
	v_and_b32_e32 v36, v36, v37
	;; [unrolled: 5-line block ×3, first 2 shown]
	v_not_b32_e32 v38, v40
	v_ashrrev_i32_e32 v37, 31, v37
	v_xor_b32_e32 v41, s19, v41
	v_lshl_add_u32 v3, v3, 3, v3
	v_and_b32_e32 v36, v36, v39
	v_cmp_gt_i32_e64 s19, 0, v40
	v_ashrrev_i32_e32 v38, 31, v38
	v_xor_b32_e32 v37, s18, v37
	v_add_lshl_u32 v49, v2, v3, 2
	v_and_b32_e32 v36, v36, v41
	s_delay_alu instid0(VALU_DEP_4) | instskip(SKIP_2) | instid1(VALU_DEP_1)
	v_xor_b32_e32 v3, s19, v38
	ds_load_b32 v47, v49 offset:32
	v_and_b32_e32 v36, v36, v37
	; wave barrier
	v_and_b32_e32 v3, v36, v3
	s_delay_alu instid0(VALU_DEP_1) | instskip(SKIP_1) | instid1(VALU_DEP_2)
	v_mbcnt_lo_u32_b32 v48, v3, 0
	v_cmp_ne_u32_e64 s19, 0, v3
	v_cmp_eq_u32_e64 s18, 0, v48
	s_delay_alu instid0(VALU_DEP_1) | instskip(NEXT) | instid1(SALU_CYCLE_1)
	s_and_b32 s19, s19, s18
	s_and_saveexec_b32 s18, s19
	s_cbranch_execz .LBB25_37
; %bb.36:
	s_waitcnt lgkmcnt(0)
	v_bcnt_u32_b32 v3, v3, v47
	ds_store_b32 v49, v3 offset:32
.LBB25_37:
	s_or_b32 exec_lo, exec_lo, s18
	v_xor_b32_e32 v9, 0x80000000, v9
	; wave barrier
	s_delay_alu instid0(VALU_DEP_1) | instskip(NEXT) | instid1(VALU_DEP_1)
	v_lshrrev_b64 v[36:37], s48, v[8:9]
	v_and_b32_e32 v3, s55, v36
	s_delay_alu instid0(VALU_DEP_1)
	v_and_b32_e32 v36, 1, v3
	v_lshlrev_b32_e32 v37, 30, v3
	v_lshlrev_b32_e32 v38, 29, v3
	;; [unrolled: 1-line block ×4, first 2 shown]
	v_add_co_u32 v36, s18, v36, -1
	s_delay_alu instid0(VALU_DEP_1)
	v_cndmask_b32_e64 v40, 0, 1, s18
	v_not_b32_e32 v52, v37
	v_cmp_gt_i32_e64 s19, 0, v37
	v_not_b32_e32 v37, v38
	v_lshlrev_b32_e32 v50, 26, v3
	v_cmp_ne_u32_e64 s18, 0, v40
	v_ashrrev_i32_e32 v52, 31, v52
	v_lshlrev_b32_e32 v51, 25, v3
	v_ashrrev_i32_e32 v37, 31, v37
	v_lshlrev_b32_e32 v40, 24, v3
	v_xor_b32_e32 v36, s18, v36
	v_cmp_gt_i32_e64 s18, 0, v38
	v_not_b32_e32 v38, v39
	v_xor_b32_e32 v52, s19, v52
	v_cmp_gt_i32_e64 s19, 0, v39
	v_and_b32_e32 v36, exec_lo, v36
	v_not_b32_e32 v39, v41
	v_ashrrev_i32_e32 v38, 31, v38
	v_xor_b32_e32 v37, s18, v37
	v_cmp_gt_i32_e64 s18, 0, v41
	v_and_b32_e32 v36, v36, v52
	v_not_b32_e32 v41, v50
	v_ashrrev_i32_e32 v39, 31, v39
	v_xor_b32_e32 v38, s19, v38
	v_cmp_gt_i32_e64 s19, 0, v50
	v_and_b32_e32 v36, v36, v37
	;; [unrolled: 5-line block ×3, first 2 shown]
	v_not_b32_e32 v38, v40
	v_ashrrev_i32_e32 v37, 31, v37
	v_xor_b32_e32 v41, s19, v41
	v_lshl_add_u32 v3, v3, 3, v3
	v_and_b32_e32 v36, v36, v39
	v_cmp_gt_i32_e64 s19, 0, v40
	v_ashrrev_i32_e32 v38, 31, v38
	v_xor_b32_e32 v37, s18, v37
	v_add_lshl_u32 v52, v2, v3, 2
	v_and_b32_e32 v36, v36, v41
	s_delay_alu instid0(VALU_DEP_4) | instskip(SKIP_2) | instid1(VALU_DEP_1)
	v_xor_b32_e32 v3, s19, v38
	ds_load_b32 v50, v52 offset:32
	v_and_b32_e32 v36, v36, v37
	; wave barrier
	v_and_b32_e32 v3, v36, v3
	s_delay_alu instid0(VALU_DEP_1) | instskip(SKIP_1) | instid1(VALU_DEP_2)
	v_mbcnt_lo_u32_b32 v51, v3, 0
	v_cmp_ne_u32_e64 s19, 0, v3
	v_cmp_eq_u32_e64 s18, 0, v51
	s_delay_alu instid0(VALU_DEP_1) | instskip(NEXT) | instid1(SALU_CYCLE_1)
	s_and_b32 s19, s19, s18
	s_and_saveexec_b32 s18, s19
	s_cbranch_execz .LBB25_39
; %bb.38:
	s_waitcnt lgkmcnt(0)
	v_bcnt_u32_b32 v3, v3, v50
	ds_store_b32 v52, v3 offset:32
.LBB25_39:
	s_or_b32 exec_lo, exec_lo, s18
	v_xor_b32_e32 v11, 0x80000000, v11
	; wave barrier
	s_delay_alu instid0(VALU_DEP_1) | instskip(NEXT) | instid1(VALU_DEP_1)
	v_lshrrev_b64 v[36:37], s48, v[10:11]
	v_and_b32_e32 v3, s55, v36
	s_delay_alu instid0(VALU_DEP_1)
	v_and_b32_e32 v36, 1, v3
	v_lshlrev_b32_e32 v37, 30, v3
	v_lshlrev_b32_e32 v38, 29, v3
	;; [unrolled: 1-line block ×4, first 2 shown]
	v_add_co_u32 v36, s18, v36, -1
	s_delay_alu instid0(VALU_DEP_1)
	v_cndmask_b32_e64 v40, 0, 1, s18
	v_not_b32_e32 v55, v37
	v_cmp_gt_i32_e64 s19, 0, v37
	v_not_b32_e32 v37, v38
	v_lshlrev_b32_e32 v53, 26, v3
	v_cmp_ne_u32_e64 s18, 0, v40
	v_ashrrev_i32_e32 v55, 31, v55
	v_lshlrev_b32_e32 v54, 25, v3
	v_ashrrev_i32_e32 v37, 31, v37
	v_lshlrev_b32_e32 v40, 24, v3
	v_xor_b32_e32 v36, s18, v36
	v_cmp_gt_i32_e64 s18, 0, v38
	v_not_b32_e32 v38, v39
	v_xor_b32_e32 v55, s19, v55
	v_cmp_gt_i32_e64 s19, 0, v39
	v_and_b32_e32 v36, exec_lo, v36
	v_not_b32_e32 v39, v41
	v_ashrrev_i32_e32 v38, 31, v38
	v_xor_b32_e32 v37, s18, v37
	v_cmp_gt_i32_e64 s18, 0, v41
	v_and_b32_e32 v36, v36, v55
	v_not_b32_e32 v41, v53
	v_ashrrev_i32_e32 v39, 31, v39
	v_xor_b32_e32 v38, s19, v38
	v_cmp_gt_i32_e64 s19, 0, v53
	v_and_b32_e32 v36, v36, v37
	;; [unrolled: 5-line block ×3, first 2 shown]
	v_not_b32_e32 v38, v40
	v_ashrrev_i32_e32 v37, 31, v37
	v_xor_b32_e32 v41, s19, v41
	v_lshl_add_u32 v3, v3, 3, v3
	v_and_b32_e32 v36, v36, v39
	v_cmp_gt_i32_e64 s19, 0, v40
	v_ashrrev_i32_e32 v38, 31, v38
	v_xor_b32_e32 v37, s18, v37
	v_add_lshl_u32 v55, v2, v3, 2
	v_and_b32_e32 v36, v36, v41
	s_delay_alu instid0(VALU_DEP_4) | instskip(SKIP_2) | instid1(VALU_DEP_1)
	v_xor_b32_e32 v3, s19, v38
	ds_load_b32 v53, v55 offset:32
	v_and_b32_e32 v36, v36, v37
	; wave barrier
	v_and_b32_e32 v3, v36, v3
	s_delay_alu instid0(VALU_DEP_1) | instskip(SKIP_1) | instid1(VALU_DEP_2)
	v_mbcnt_lo_u32_b32 v54, v3, 0
	v_cmp_ne_u32_e64 s19, 0, v3
	v_cmp_eq_u32_e64 s18, 0, v54
	s_delay_alu instid0(VALU_DEP_1) | instskip(NEXT) | instid1(SALU_CYCLE_1)
	s_and_b32 s19, s19, s18
	s_and_saveexec_b32 s18, s19
	s_cbranch_execz .LBB25_41
; %bb.40:
	s_waitcnt lgkmcnt(0)
	v_bcnt_u32_b32 v3, v3, v53
	ds_store_b32 v55, v3 offset:32
.LBB25_41:
	s_or_b32 exec_lo, exec_lo, s18
	v_xor_b32_e32 v13, 0x80000000, v13
	; wave barrier
	s_delay_alu instid0(VALU_DEP_1) | instskip(NEXT) | instid1(VALU_DEP_1)
	v_lshrrev_b64 v[36:37], s48, v[12:13]
	v_and_b32_e32 v3, s55, v36
	s_delay_alu instid0(VALU_DEP_1)
	v_and_b32_e32 v36, 1, v3
	v_lshlrev_b32_e32 v37, 30, v3
	v_lshlrev_b32_e32 v38, 29, v3
	;; [unrolled: 1-line block ×4, first 2 shown]
	v_add_co_u32 v36, s18, v36, -1
	s_delay_alu instid0(VALU_DEP_1)
	v_cndmask_b32_e64 v40, 0, 1, s18
	v_not_b32_e32 v58, v37
	v_cmp_gt_i32_e64 s19, 0, v37
	v_not_b32_e32 v37, v38
	v_lshlrev_b32_e32 v56, 26, v3
	v_cmp_ne_u32_e64 s18, 0, v40
	v_ashrrev_i32_e32 v58, 31, v58
	v_lshlrev_b32_e32 v57, 25, v3
	v_ashrrev_i32_e32 v37, 31, v37
	v_lshlrev_b32_e32 v40, 24, v3
	v_xor_b32_e32 v36, s18, v36
	v_cmp_gt_i32_e64 s18, 0, v38
	v_not_b32_e32 v38, v39
	v_xor_b32_e32 v58, s19, v58
	v_cmp_gt_i32_e64 s19, 0, v39
	v_and_b32_e32 v36, exec_lo, v36
	v_not_b32_e32 v39, v41
	v_ashrrev_i32_e32 v38, 31, v38
	v_xor_b32_e32 v37, s18, v37
	v_cmp_gt_i32_e64 s18, 0, v41
	v_and_b32_e32 v36, v36, v58
	v_not_b32_e32 v41, v56
	v_ashrrev_i32_e32 v39, 31, v39
	v_xor_b32_e32 v38, s19, v38
	v_cmp_gt_i32_e64 s19, 0, v56
	v_and_b32_e32 v36, v36, v37
	;; [unrolled: 5-line block ×3, first 2 shown]
	v_not_b32_e32 v38, v40
	v_ashrrev_i32_e32 v37, 31, v37
	v_xor_b32_e32 v41, s19, v41
	v_lshl_add_u32 v3, v3, 3, v3
	v_and_b32_e32 v36, v36, v39
	v_cmp_gt_i32_e64 s19, 0, v40
	v_ashrrev_i32_e32 v38, 31, v38
	v_xor_b32_e32 v37, s18, v37
	v_add_lshl_u32 v58, v2, v3, 2
	v_and_b32_e32 v36, v36, v41
	s_delay_alu instid0(VALU_DEP_4) | instskip(SKIP_2) | instid1(VALU_DEP_1)
	v_xor_b32_e32 v3, s19, v38
	ds_load_b32 v56, v58 offset:32
	v_and_b32_e32 v36, v36, v37
	; wave barrier
	v_and_b32_e32 v3, v36, v3
	s_delay_alu instid0(VALU_DEP_1) | instskip(SKIP_1) | instid1(VALU_DEP_2)
	v_mbcnt_lo_u32_b32 v57, v3, 0
	v_cmp_ne_u32_e64 s19, 0, v3
	v_cmp_eq_u32_e64 s18, 0, v57
	s_delay_alu instid0(VALU_DEP_1) | instskip(NEXT) | instid1(SALU_CYCLE_1)
	s_and_b32 s19, s19, s18
	s_and_saveexec_b32 s18, s19
	s_cbranch_execz .LBB25_43
; %bb.42:
	s_waitcnt lgkmcnt(0)
	v_bcnt_u32_b32 v3, v3, v56
	ds_store_b32 v58, v3 offset:32
.LBB25_43:
	s_or_b32 exec_lo, exec_lo, s18
	v_xor_b32_e32 v15, 0x80000000, v15
	; wave barrier
	s_delay_alu instid0(VALU_DEP_1) | instskip(NEXT) | instid1(VALU_DEP_1)
	v_lshrrev_b64 v[36:37], s48, v[14:15]
	v_and_b32_e32 v3, s55, v36
	s_delay_alu instid0(VALU_DEP_1)
	v_and_b32_e32 v36, 1, v3
	v_lshlrev_b32_e32 v37, 30, v3
	v_lshlrev_b32_e32 v38, 29, v3
	;; [unrolled: 1-line block ×4, first 2 shown]
	v_add_co_u32 v36, s18, v36, -1
	s_delay_alu instid0(VALU_DEP_1)
	v_cndmask_b32_e64 v40, 0, 1, s18
	v_not_b32_e32 v61, v37
	v_cmp_gt_i32_e64 s19, 0, v37
	v_not_b32_e32 v37, v38
	v_lshlrev_b32_e32 v59, 26, v3
	v_cmp_ne_u32_e64 s18, 0, v40
	v_ashrrev_i32_e32 v61, 31, v61
	v_lshlrev_b32_e32 v60, 25, v3
	v_ashrrev_i32_e32 v37, 31, v37
	v_lshlrev_b32_e32 v40, 24, v3
	v_xor_b32_e32 v36, s18, v36
	v_cmp_gt_i32_e64 s18, 0, v38
	v_not_b32_e32 v38, v39
	v_xor_b32_e32 v61, s19, v61
	v_cmp_gt_i32_e64 s19, 0, v39
	v_and_b32_e32 v36, exec_lo, v36
	v_not_b32_e32 v39, v41
	v_ashrrev_i32_e32 v38, 31, v38
	v_xor_b32_e32 v37, s18, v37
	v_cmp_gt_i32_e64 s18, 0, v41
	v_and_b32_e32 v36, v36, v61
	v_not_b32_e32 v41, v59
	v_ashrrev_i32_e32 v39, 31, v39
	v_xor_b32_e32 v38, s19, v38
	v_cmp_gt_i32_e64 s19, 0, v59
	v_and_b32_e32 v36, v36, v37
	;; [unrolled: 5-line block ×3, first 2 shown]
	v_not_b32_e32 v38, v40
	v_ashrrev_i32_e32 v37, 31, v37
	v_xor_b32_e32 v41, s19, v41
	v_lshl_add_u32 v3, v3, 3, v3
	v_and_b32_e32 v36, v36, v39
	v_cmp_gt_i32_e64 s19, 0, v40
	v_ashrrev_i32_e32 v38, 31, v38
	v_xor_b32_e32 v37, s18, v37
	v_add_lshl_u32 v61, v2, v3, 2
	v_and_b32_e32 v36, v36, v41
	s_delay_alu instid0(VALU_DEP_4) | instskip(SKIP_2) | instid1(VALU_DEP_1)
	v_xor_b32_e32 v3, s19, v38
	ds_load_b32 v59, v61 offset:32
	v_and_b32_e32 v36, v36, v37
	; wave barrier
	v_and_b32_e32 v3, v36, v3
	s_delay_alu instid0(VALU_DEP_1) | instskip(SKIP_1) | instid1(VALU_DEP_2)
	v_mbcnt_lo_u32_b32 v60, v3, 0
	v_cmp_ne_u32_e64 s19, 0, v3
	v_cmp_eq_u32_e64 s18, 0, v60
	s_delay_alu instid0(VALU_DEP_1) | instskip(NEXT) | instid1(SALU_CYCLE_1)
	s_and_b32 s19, s19, s18
	s_and_saveexec_b32 s18, s19
	s_cbranch_execz .LBB25_45
; %bb.44:
	s_waitcnt lgkmcnt(0)
	v_bcnt_u32_b32 v3, v3, v59
	ds_store_b32 v61, v3 offset:32
.LBB25_45:
	s_or_b32 exec_lo, exec_lo, s18
	v_xor_b32_e32 v17, 0x80000000, v17
	; wave barrier
	s_delay_alu instid0(VALU_DEP_1) | instskip(NEXT) | instid1(VALU_DEP_1)
	v_lshrrev_b64 v[36:37], s48, v[16:17]
	v_and_b32_e32 v3, s55, v36
	s_delay_alu instid0(VALU_DEP_1)
	v_and_b32_e32 v36, 1, v3
	v_lshlrev_b32_e32 v37, 30, v3
	v_lshlrev_b32_e32 v38, 29, v3
	;; [unrolled: 1-line block ×4, first 2 shown]
	v_add_co_u32 v36, s18, v36, -1
	s_delay_alu instid0(VALU_DEP_1)
	v_cndmask_b32_e64 v40, 0, 1, s18
	v_not_b32_e32 v64, v37
	v_cmp_gt_i32_e64 s19, 0, v37
	v_not_b32_e32 v37, v38
	v_lshlrev_b32_e32 v62, 26, v3
	v_cmp_ne_u32_e64 s18, 0, v40
	v_ashrrev_i32_e32 v64, 31, v64
	v_lshlrev_b32_e32 v63, 25, v3
	v_ashrrev_i32_e32 v37, 31, v37
	v_lshlrev_b32_e32 v40, 24, v3
	v_xor_b32_e32 v36, s18, v36
	v_cmp_gt_i32_e64 s18, 0, v38
	v_not_b32_e32 v38, v39
	v_xor_b32_e32 v64, s19, v64
	v_cmp_gt_i32_e64 s19, 0, v39
	v_and_b32_e32 v36, exec_lo, v36
	v_not_b32_e32 v39, v41
	v_ashrrev_i32_e32 v38, 31, v38
	v_xor_b32_e32 v37, s18, v37
	v_cmp_gt_i32_e64 s18, 0, v41
	v_and_b32_e32 v36, v36, v64
	v_not_b32_e32 v41, v62
	v_ashrrev_i32_e32 v39, 31, v39
	v_xor_b32_e32 v38, s19, v38
	v_cmp_gt_i32_e64 s19, 0, v62
	v_and_b32_e32 v36, v36, v37
	;; [unrolled: 5-line block ×3, first 2 shown]
	v_not_b32_e32 v38, v40
	v_ashrrev_i32_e32 v37, 31, v37
	v_xor_b32_e32 v41, s19, v41
	v_lshl_add_u32 v3, v3, 3, v3
	v_and_b32_e32 v36, v36, v39
	v_cmp_gt_i32_e64 s19, 0, v40
	v_ashrrev_i32_e32 v38, 31, v38
	v_xor_b32_e32 v37, s18, v37
	v_add_lshl_u32 v64, v2, v3, 2
	v_and_b32_e32 v36, v36, v41
	s_delay_alu instid0(VALU_DEP_4) | instskip(SKIP_2) | instid1(VALU_DEP_1)
	v_xor_b32_e32 v3, s19, v38
	ds_load_b32 v62, v64 offset:32
	v_and_b32_e32 v36, v36, v37
	; wave barrier
	v_and_b32_e32 v3, v36, v3
	s_delay_alu instid0(VALU_DEP_1) | instskip(SKIP_1) | instid1(VALU_DEP_2)
	v_mbcnt_lo_u32_b32 v63, v3, 0
	v_cmp_ne_u32_e64 s19, 0, v3
	v_cmp_eq_u32_e64 s18, 0, v63
	s_delay_alu instid0(VALU_DEP_1) | instskip(NEXT) | instid1(SALU_CYCLE_1)
	s_and_b32 s19, s19, s18
	s_and_saveexec_b32 s18, s19
	s_cbranch_execz .LBB25_47
; %bb.46:
	s_waitcnt lgkmcnt(0)
	v_bcnt_u32_b32 v3, v3, v62
	ds_store_b32 v64, v3 offset:32
.LBB25_47:
	s_or_b32 exec_lo, exec_lo, s18
	v_xor_b32_e32 v19, 0x80000000, v19
	; wave barrier
	s_delay_alu instid0(VALU_DEP_1) | instskip(NEXT) | instid1(VALU_DEP_1)
	v_lshrrev_b64 v[36:37], s48, v[18:19]
	v_and_b32_e32 v3, s55, v36
	s_delay_alu instid0(VALU_DEP_1)
	v_and_b32_e32 v36, 1, v3
	v_lshlrev_b32_e32 v37, 30, v3
	v_lshlrev_b32_e32 v38, 29, v3
	;; [unrolled: 1-line block ×4, first 2 shown]
	v_add_co_u32 v36, s18, v36, -1
	s_delay_alu instid0(VALU_DEP_1)
	v_cndmask_b32_e64 v40, 0, 1, s18
	v_not_b32_e32 v67, v37
	v_cmp_gt_i32_e64 s19, 0, v37
	v_not_b32_e32 v37, v38
	v_lshlrev_b32_e32 v65, 26, v3
	v_cmp_ne_u32_e64 s18, 0, v40
	v_ashrrev_i32_e32 v67, 31, v67
	v_lshlrev_b32_e32 v66, 25, v3
	v_ashrrev_i32_e32 v37, 31, v37
	v_lshlrev_b32_e32 v40, 24, v3
	v_xor_b32_e32 v36, s18, v36
	v_cmp_gt_i32_e64 s18, 0, v38
	v_not_b32_e32 v38, v39
	v_xor_b32_e32 v67, s19, v67
	v_cmp_gt_i32_e64 s19, 0, v39
	v_and_b32_e32 v36, exec_lo, v36
	v_not_b32_e32 v39, v41
	v_ashrrev_i32_e32 v38, 31, v38
	v_xor_b32_e32 v37, s18, v37
	v_cmp_gt_i32_e64 s18, 0, v41
	v_and_b32_e32 v36, v36, v67
	v_not_b32_e32 v41, v65
	v_ashrrev_i32_e32 v39, 31, v39
	v_xor_b32_e32 v38, s19, v38
	v_cmp_gt_i32_e64 s19, 0, v65
	v_and_b32_e32 v36, v36, v37
	;; [unrolled: 5-line block ×3, first 2 shown]
	v_not_b32_e32 v38, v40
	v_ashrrev_i32_e32 v37, 31, v37
	v_xor_b32_e32 v41, s19, v41
	v_lshl_add_u32 v3, v3, 3, v3
	v_and_b32_e32 v36, v36, v39
	v_cmp_gt_i32_e64 s19, 0, v40
	v_ashrrev_i32_e32 v38, 31, v38
	v_xor_b32_e32 v37, s18, v37
	v_add_lshl_u32 v67, v2, v3, 2
	v_and_b32_e32 v36, v36, v41
	s_delay_alu instid0(VALU_DEP_4) | instskip(SKIP_2) | instid1(VALU_DEP_1)
	v_xor_b32_e32 v3, s19, v38
	ds_load_b32 v65, v67 offset:32
	v_and_b32_e32 v36, v36, v37
	; wave barrier
	v_and_b32_e32 v3, v36, v3
	s_delay_alu instid0(VALU_DEP_1) | instskip(SKIP_1) | instid1(VALU_DEP_2)
	v_mbcnt_lo_u32_b32 v66, v3, 0
	v_cmp_ne_u32_e64 s19, 0, v3
	v_cmp_eq_u32_e64 s18, 0, v66
	s_delay_alu instid0(VALU_DEP_1) | instskip(NEXT) | instid1(SALU_CYCLE_1)
	s_and_b32 s19, s19, s18
	s_and_saveexec_b32 s18, s19
	s_cbranch_execz .LBB25_49
; %bb.48:
	s_waitcnt lgkmcnt(0)
	v_bcnt_u32_b32 v3, v3, v65
	ds_store_b32 v67, v3 offset:32
.LBB25_49:
	s_or_b32 exec_lo, exec_lo, s18
	v_xor_b32_e32 v21, 0x80000000, v21
	; wave barrier
	s_delay_alu instid0(VALU_DEP_1) | instskip(NEXT) | instid1(VALU_DEP_1)
	v_lshrrev_b64 v[36:37], s48, v[20:21]
	v_and_b32_e32 v3, s55, v36
	s_delay_alu instid0(VALU_DEP_1)
	v_and_b32_e32 v36, 1, v3
	v_lshlrev_b32_e32 v37, 30, v3
	v_lshlrev_b32_e32 v38, 29, v3
	;; [unrolled: 1-line block ×4, first 2 shown]
	v_add_co_u32 v36, s18, v36, -1
	s_delay_alu instid0(VALU_DEP_1)
	v_cndmask_b32_e64 v40, 0, 1, s18
	v_not_b32_e32 v70, v37
	v_cmp_gt_i32_e64 s19, 0, v37
	v_not_b32_e32 v37, v38
	v_lshlrev_b32_e32 v68, 26, v3
	v_cmp_ne_u32_e64 s18, 0, v40
	v_ashrrev_i32_e32 v70, 31, v70
	v_lshlrev_b32_e32 v69, 25, v3
	v_ashrrev_i32_e32 v37, 31, v37
	v_lshlrev_b32_e32 v40, 24, v3
	v_xor_b32_e32 v36, s18, v36
	v_cmp_gt_i32_e64 s18, 0, v38
	v_not_b32_e32 v38, v39
	v_xor_b32_e32 v70, s19, v70
	v_cmp_gt_i32_e64 s19, 0, v39
	v_and_b32_e32 v36, exec_lo, v36
	v_not_b32_e32 v39, v41
	v_ashrrev_i32_e32 v38, 31, v38
	v_xor_b32_e32 v37, s18, v37
	v_cmp_gt_i32_e64 s18, 0, v41
	v_and_b32_e32 v36, v36, v70
	v_not_b32_e32 v41, v68
	v_ashrrev_i32_e32 v39, 31, v39
	v_xor_b32_e32 v38, s19, v38
	v_cmp_gt_i32_e64 s19, 0, v68
	v_and_b32_e32 v36, v36, v37
	;; [unrolled: 5-line block ×3, first 2 shown]
	v_not_b32_e32 v38, v40
	v_ashrrev_i32_e32 v37, 31, v37
	v_xor_b32_e32 v41, s19, v41
	v_lshl_add_u32 v3, v3, 3, v3
	v_and_b32_e32 v36, v36, v39
	v_cmp_gt_i32_e64 s19, 0, v40
	v_ashrrev_i32_e32 v38, 31, v38
	v_xor_b32_e32 v37, s18, v37
	v_add_lshl_u32 v70, v2, v3, 2
	v_and_b32_e32 v36, v36, v41
	s_delay_alu instid0(VALU_DEP_4) | instskip(SKIP_2) | instid1(VALU_DEP_1)
	v_xor_b32_e32 v3, s19, v38
	ds_load_b32 v68, v70 offset:32
	v_and_b32_e32 v36, v36, v37
	; wave barrier
	v_and_b32_e32 v3, v36, v3
	s_delay_alu instid0(VALU_DEP_1) | instskip(SKIP_1) | instid1(VALU_DEP_2)
	v_mbcnt_lo_u32_b32 v69, v3, 0
	v_cmp_ne_u32_e64 s19, 0, v3
	v_cmp_eq_u32_e64 s18, 0, v69
	s_delay_alu instid0(VALU_DEP_1) | instskip(NEXT) | instid1(SALU_CYCLE_1)
	s_and_b32 s19, s19, s18
	s_and_saveexec_b32 s18, s19
	s_cbranch_execz .LBB25_51
; %bb.50:
	s_waitcnt lgkmcnt(0)
	v_bcnt_u32_b32 v3, v3, v68
	ds_store_b32 v70, v3 offset:32
.LBB25_51:
	s_or_b32 exec_lo, exec_lo, s18
	v_xor_b32_e32 v23, 0x80000000, v23
	; wave barrier
	s_delay_alu instid0(VALU_DEP_1) | instskip(NEXT) | instid1(VALU_DEP_1)
	v_lshrrev_b64 v[36:37], s48, v[22:23]
	v_and_b32_e32 v3, s55, v36
	s_delay_alu instid0(VALU_DEP_1)
	v_and_b32_e32 v36, 1, v3
	v_lshlrev_b32_e32 v37, 30, v3
	v_lshlrev_b32_e32 v38, 29, v3
	;; [unrolled: 1-line block ×4, first 2 shown]
	v_add_co_u32 v36, s18, v36, -1
	s_delay_alu instid0(VALU_DEP_1)
	v_cndmask_b32_e64 v40, 0, 1, s18
	v_not_b32_e32 v73, v37
	v_cmp_gt_i32_e64 s19, 0, v37
	v_not_b32_e32 v37, v38
	v_lshlrev_b32_e32 v71, 26, v3
	v_cmp_ne_u32_e64 s18, 0, v40
	v_ashrrev_i32_e32 v73, 31, v73
	v_lshlrev_b32_e32 v72, 25, v3
	v_ashrrev_i32_e32 v37, 31, v37
	v_lshlrev_b32_e32 v40, 24, v3
	v_xor_b32_e32 v36, s18, v36
	v_cmp_gt_i32_e64 s18, 0, v38
	v_not_b32_e32 v38, v39
	v_xor_b32_e32 v73, s19, v73
	v_cmp_gt_i32_e64 s19, 0, v39
	v_and_b32_e32 v36, exec_lo, v36
	v_not_b32_e32 v39, v41
	v_ashrrev_i32_e32 v38, 31, v38
	v_xor_b32_e32 v37, s18, v37
	v_cmp_gt_i32_e64 s18, 0, v41
	v_and_b32_e32 v36, v36, v73
	v_not_b32_e32 v41, v71
	v_ashrrev_i32_e32 v39, 31, v39
	v_xor_b32_e32 v38, s19, v38
	v_cmp_gt_i32_e64 s19, 0, v71
	v_and_b32_e32 v36, v36, v37
	;; [unrolled: 5-line block ×3, first 2 shown]
	v_not_b32_e32 v38, v40
	v_ashrrev_i32_e32 v37, 31, v37
	v_xor_b32_e32 v41, s19, v41
	v_lshl_add_u32 v3, v3, 3, v3
	v_and_b32_e32 v36, v36, v39
	v_cmp_gt_i32_e64 s19, 0, v40
	v_ashrrev_i32_e32 v38, 31, v38
	v_xor_b32_e32 v37, s18, v37
	v_add_lshl_u32 v73, v2, v3, 2
	v_and_b32_e32 v36, v36, v41
	s_delay_alu instid0(VALU_DEP_4) | instskip(SKIP_2) | instid1(VALU_DEP_1)
	v_xor_b32_e32 v3, s19, v38
	ds_load_b32 v71, v73 offset:32
	v_and_b32_e32 v36, v36, v37
	; wave barrier
	v_and_b32_e32 v3, v36, v3
	s_delay_alu instid0(VALU_DEP_1) | instskip(SKIP_1) | instid1(VALU_DEP_2)
	v_mbcnt_lo_u32_b32 v72, v3, 0
	v_cmp_ne_u32_e64 s19, 0, v3
	v_cmp_eq_u32_e64 s18, 0, v72
	s_delay_alu instid0(VALU_DEP_1) | instskip(NEXT) | instid1(SALU_CYCLE_1)
	s_and_b32 s19, s19, s18
	s_and_saveexec_b32 s18, s19
	s_cbranch_execz .LBB25_53
; %bb.52:
	s_waitcnt lgkmcnt(0)
	v_bcnt_u32_b32 v3, v3, v71
	ds_store_b32 v73, v3 offset:32
.LBB25_53:
	s_or_b32 exec_lo, exec_lo, s18
	v_xor_b32_e32 v25, 0x80000000, v25
	; wave barrier
	s_delay_alu instid0(VALU_DEP_1) | instskip(NEXT) | instid1(VALU_DEP_1)
	v_lshrrev_b64 v[36:37], s48, v[24:25]
	v_and_b32_e32 v3, s55, v36
	s_delay_alu instid0(VALU_DEP_1)
	v_and_b32_e32 v36, 1, v3
	v_lshlrev_b32_e32 v37, 30, v3
	v_lshlrev_b32_e32 v38, 29, v3
	;; [unrolled: 1-line block ×4, first 2 shown]
	v_add_co_u32 v36, s18, v36, -1
	s_delay_alu instid0(VALU_DEP_1)
	v_cndmask_b32_e64 v40, 0, 1, s18
	v_not_b32_e32 v76, v37
	v_cmp_gt_i32_e64 s19, 0, v37
	v_not_b32_e32 v37, v38
	v_lshlrev_b32_e32 v74, 26, v3
	v_cmp_ne_u32_e64 s18, 0, v40
	v_ashrrev_i32_e32 v76, 31, v76
	v_lshlrev_b32_e32 v75, 25, v3
	v_ashrrev_i32_e32 v37, 31, v37
	v_lshlrev_b32_e32 v40, 24, v3
	v_xor_b32_e32 v36, s18, v36
	v_cmp_gt_i32_e64 s18, 0, v38
	v_not_b32_e32 v38, v39
	v_xor_b32_e32 v76, s19, v76
	v_cmp_gt_i32_e64 s19, 0, v39
	v_and_b32_e32 v36, exec_lo, v36
	v_not_b32_e32 v39, v41
	v_ashrrev_i32_e32 v38, 31, v38
	v_xor_b32_e32 v37, s18, v37
	v_cmp_gt_i32_e64 s18, 0, v41
	v_and_b32_e32 v36, v36, v76
	v_not_b32_e32 v41, v74
	v_ashrrev_i32_e32 v39, 31, v39
	v_xor_b32_e32 v38, s19, v38
	v_cmp_gt_i32_e64 s19, 0, v74
	v_and_b32_e32 v36, v36, v37
	;; [unrolled: 5-line block ×3, first 2 shown]
	v_not_b32_e32 v38, v40
	v_ashrrev_i32_e32 v37, 31, v37
	v_xor_b32_e32 v41, s19, v41
	v_lshl_add_u32 v3, v3, 3, v3
	v_and_b32_e32 v36, v36, v39
	v_cmp_gt_i32_e64 s19, 0, v40
	v_ashrrev_i32_e32 v38, 31, v38
	v_xor_b32_e32 v37, s18, v37
	v_add_lshl_u32 v76, v2, v3, 2
	v_and_b32_e32 v36, v36, v41
	s_delay_alu instid0(VALU_DEP_4) | instskip(SKIP_2) | instid1(VALU_DEP_1)
	v_xor_b32_e32 v3, s19, v38
	ds_load_b32 v74, v76 offset:32
	v_and_b32_e32 v36, v36, v37
	; wave barrier
	v_and_b32_e32 v3, v36, v3
	s_delay_alu instid0(VALU_DEP_1) | instskip(SKIP_1) | instid1(VALU_DEP_2)
	v_mbcnt_lo_u32_b32 v75, v3, 0
	v_cmp_ne_u32_e64 s19, 0, v3
	v_cmp_eq_u32_e64 s18, 0, v75
	s_delay_alu instid0(VALU_DEP_1) | instskip(NEXT) | instid1(SALU_CYCLE_1)
	s_and_b32 s19, s19, s18
	s_and_saveexec_b32 s18, s19
	s_cbranch_execz .LBB25_55
; %bb.54:
	s_waitcnt lgkmcnt(0)
	v_bcnt_u32_b32 v3, v3, v74
	ds_store_b32 v76, v3 offset:32
.LBB25_55:
	s_or_b32 exec_lo, exec_lo, s18
	v_xor_b32_e32 v27, 0x80000000, v27
	; wave barrier
	s_delay_alu instid0(VALU_DEP_1) | instskip(NEXT) | instid1(VALU_DEP_1)
	v_lshrrev_b64 v[36:37], s48, v[26:27]
	v_and_b32_e32 v3, s55, v36
	s_delay_alu instid0(VALU_DEP_1)
	v_and_b32_e32 v36, 1, v3
	v_lshlrev_b32_e32 v37, 30, v3
	v_lshlrev_b32_e32 v38, 29, v3
	;; [unrolled: 1-line block ×4, first 2 shown]
	v_add_co_u32 v36, s18, v36, -1
	s_delay_alu instid0(VALU_DEP_1)
	v_cndmask_b32_e64 v40, 0, 1, s18
	v_not_b32_e32 v79, v37
	v_cmp_gt_i32_e64 s19, 0, v37
	v_not_b32_e32 v37, v38
	v_lshlrev_b32_e32 v77, 26, v3
	v_cmp_ne_u32_e64 s18, 0, v40
	v_ashrrev_i32_e32 v79, 31, v79
	v_lshlrev_b32_e32 v78, 25, v3
	v_ashrrev_i32_e32 v37, 31, v37
	v_lshlrev_b32_e32 v40, 24, v3
	v_xor_b32_e32 v36, s18, v36
	v_cmp_gt_i32_e64 s18, 0, v38
	v_not_b32_e32 v38, v39
	v_xor_b32_e32 v79, s19, v79
	v_cmp_gt_i32_e64 s19, 0, v39
	v_and_b32_e32 v36, exec_lo, v36
	v_not_b32_e32 v39, v41
	v_ashrrev_i32_e32 v38, 31, v38
	v_xor_b32_e32 v37, s18, v37
	v_cmp_gt_i32_e64 s18, 0, v41
	v_and_b32_e32 v36, v36, v79
	v_not_b32_e32 v41, v77
	v_ashrrev_i32_e32 v39, 31, v39
	v_xor_b32_e32 v38, s19, v38
	v_cmp_gt_i32_e64 s19, 0, v77
	v_and_b32_e32 v36, v36, v37
	;; [unrolled: 5-line block ×3, first 2 shown]
	v_not_b32_e32 v38, v40
	v_ashrrev_i32_e32 v37, 31, v37
	v_xor_b32_e32 v41, s19, v41
	v_lshl_add_u32 v3, v3, 3, v3
	v_and_b32_e32 v36, v36, v39
	v_cmp_gt_i32_e64 s19, 0, v40
	v_ashrrev_i32_e32 v38, 31, v38
	v_xor_b32_e32 v37, s18, v37
	v_add_lshl_u32 v79, v2, v3, 2
	v_and_b32_e32 v36, v36, v41
	s_delay_alu instid0(VALU_DEP_4) | instskip(SKIP_2) | instid1(VALU_DEP_1)
	v_xor_b32_e32 v3, s19, v38
	ds_load_b32 v77, v79 offset:32
	v_and_b32_e32 v36, v36, v37
	; wave barrier
	v_and_b32_e32 v3, v36, v3
	s_delay_alu instid0(VALU_DEP_1) | instskip(SKIP_1) | instid1(VALU_DEP_2)
	v_mbcnt_lo_u32_b32 v78, v3, 0
	v_cmp_ne_u32_e64 s19, 0, v3
	v_cmp_eq_u32_e64 s18, 0, v78
	s_delay_alu instid0(VALU_DEP_1) | instskip(NEXT) | instid1(SALU_CYCLE_1)
	s_and_b32 s19, s19, s18
	s_and_saveexec_b32 s18, s19
	s_cbranch_execz .LBB25_57
; %bb.56:
	s_waitcnt lgkmcnt(0)
	v_bcnt_u32_b32 v3, v3, v77
	ds_store_b32 v79, v3 offset:32
.LBB25_57:
	s_or_b32 exec_lo, exec_lo, s18
	v_xor_b32_e32 v29, 0x80000000, v29
	; wave barrier
	s_delay_alu instid0(VALU_DEP_1) | instskip(NEXT) | instid1(VALU_DEP_1)
	v_lshrrev_b64 v[36:37], s48, v[28:29]
	v_and_b32_e32 v3, s55, v36
	s_delay_alu instid0(VALU_DEP_1)
	v_and_b32_e32 v36, 1, v3
	v_lshlrev_b32_e32 v37, 30, v3
	v_lshlrev_b32_e32 v38, 29, v3
	;; [unrolled: 1-line block ×4, first 2 shown]
	v_add_co_u32 v36, s18, v36, -1
	s_delay_alu instid0(VALU_DEP_1)
	v_cndmask_b32_e64 v40, 0, 1, s18
	v_not_b32_e32 v82, v37
	v_cmp_gt_i32_e64 s19, 0, v37
	v_not_b32_e32 v37, v38
	v_lshlrev_b32_e32 v80, 26, v3
	v_cmp_ne_u32_e64 s18, 0, v40
	v_ashrrev_i32_e32 v82, 31, v82
	v_lshlrev_b32_e32 v81, 25, v3
	v_ashrrev_i32_e32 v37, 31, v37
	v_lshlrev_b32_e32 v40, 24, v3
	v_xor_b32_e32 v36, s18, v36
	v_cmp_gt_i32_e64 s18, 0, v38
	v_not_b32_e32 v38, v39
	v_xor_b32_e32 v82, s19, v82
	v_cmp_gt_i32_e64 s19, 0, v39
	v_and_b32_e32 v36, exec_lo, v36
	v_not_b32_e32 v39, v41
	v_ashrrev_i32_e32 v38, 31, v38
	v_xor_b32_e32 v37, s18, v37
	v_cmp_gt_i32_e64 s18, 0, v41
	v_and_b32_e32 v36, v36, v82
	v_not_b32_e32 v41, v80
	v_ashrrev_i32_e32 v39, 31, v39
	v_xor_b32_e32 v38, s19, v38
	v_cmp_gt_i32_e64 s19, 0, v80
	v_and_b32_e32 v36, v36, v37
	;; [unrolled: 5-line block ×3, first 2 shown]
	v_not_b32_e32 v38, v40
	v_ashrrev_i32_e32 v37, 31, v37
	v_xor_b32_e32 v41, s19, v41
	v_lshl_add_u32 v3, v3, 3, v3
	v_and_b32_e32 v36, v36, v39
	v_cmp_gt_i32_e64 s19, 0, v40
	v_ashrrev_i32_e32 v38, 31, v38
	v_xor_b32_e32 v37, s18, v37
	v_add_lshl_u32 v82, v2, v3, 2
	v_and_b32_e32 v36, v36, v41
	s_delay_alu instid0(VALU_DEP_4) | instskip(SKIP_2) | instid1(VALU_DEP_1)
	v_xor_b32_e32 v3, s19, v38
	ds_load_b32 v80, v82 offset:32
	v_and_b32_e32 v36, v36, v37
	; wave barrier
	v_and_b32_e32 v3, v36, v3
	s_delay_alu instid0(VALU_DEP_1) | instskip(SKIP_1) | instid1(VALU_DEP_2)
	v_mbcnt_lo_u32_b32 v81, v3, 0
	v_cmp_ne_u32_e64 s19, 0, v3
	v_cmp_eq_u32_e64 s18, 0, v81
	s_delay_alu instid0(VALU_DEP_1) | instskip(NEXT) | instid1(SALU_CYCLE_1)
	s_and_b32 s19, s19, s18
	s_and_saveexec_b32 s18, s19
	s_cbranch_execz .LBB25_59
; %bb.58:
	s_waitcnt lgkmcnt(0)
	v_bcnt_u32_b32 v3, v3, v80
	ds_store_b32 v82, v3 offset:32
.LBB25_59:
	s_or_b32 exec_lo, exec_lo, s18
	v_xor_b32_e32 v31, 0x80000000, v31
	; wave barrier
	s_delay_alu instid0(VALU_DEP_1) | instskip(NEXT) | instid1(VALU_DEP_1)
	v_lshrrev_b64 v[36:37], s48, v[30:31]
	v_and_b32_e32 v3, s55, v36
	s_delay_alu instid0(VALU_DEP_1)
	v_and_b32_e32 v36, 1, v3
	v_lshlrev_b32_e32 v37, 30, v3
	v_lshlrev_b32_e32 v38, 29, v3
	;; [unrolled: 1-line block ×4, first 2 shown]
	v_add_co_u32 v36, s18, v36, -1
	s_delay_alu instid0(VALU_DEP_1)
	v_cndmask_b32_e64 v40, 0, 1, s18
	v_not_b32_e32 v85, v37
	v_cmp_gt_i32_e64 s19, 0, v37
	v_not_b32_e32 v37, v38
	v_lshlrev_b32_e32 v83, 26, v3
	v_cmp_ne_u32_e64 s18, 0, v40
	v_ashrrev_i32_e32 v85, 31, v85
	v_lshlrev_b32_e32 v84, 25, v3
	v_ashrrev_i32_e32 v37, 31, v37
	v_lshlrev_b32_e32 v40, 24, v3
	v_xor_b32_e32 v36, s18, v36
	v_cmp_gt_i32_e64 s18, 0, v38
	v_not_b32_e32 v38, v39
	v_xor_b32_e32 v85, s19, v85
	v_cmp_gt_i32_e64 s19, 0, v39
	v_and_b32_e32 v36, exec_lo, v36
	v_not_b32_e32 v39, v41
	v_ashrrev_i32_e32 v38, 31, v38
	v_xor_b32_e32 v37, s18, v37
	v_cmp_gt_i32_e64 s18, 0, v41
	v_and_b32_e32 v36, v36, v85
	v_not_b32_e32 v41, v83
	v_ashrrev_i32_e32 v39, 31, v39
	v_xor_b32_e32 v38, s19, v38
	v_cmp_gt_i32_e64 s19, 0, v83
	v_and_b32_e32 v36, v36, v37
	;; [unrolled: 5-line block ×3, first 2 shown]
	v_not_b32_e32 v38, v40
	v_ashrrev_i32_e32 v37, 31, v37
	v_xor_b32_e32 v41, s19, v41
	v_lshl_add_u32 v3, v3, 3, v3
	v_and_b32_e32 v36, v36, v39
	v_cmp_gt_i32_e64 s19, 0, v40
	v_ashrrev_i32_e32 v38, 31, v38
	v_xor_b32_e32 v37, s18, v37
	v_add_lshl_u32 v85, v2, v3, 2
	v_and_b32_e32 v36, v36, v41
	s_delay_alu instid0(VALU_DEP_4) | instskip(SKIP_2) | instid1(VALU_DEP_1)
	v_xor_b32_e32 v3, s19, v38
	ds_load_b32 v83, v85 offset:32
	v_and_b32_e32 v36, v36, v37
	; wave barrier
	v_and_b32_e32 v3, v36, v3
	s_delay_alu instid0(VALU_DEP_1) | instskip(SKIP_1) | instid1(VALU_DEP_2)
	v_mbcnt_lo_u32_b32 v84, v3, 0
	v_cmp_ne_u32_e64 s19, 0, v3
	v_cmp_eq_u32_e64 s18, 0, v84
	s_delay_alu instid0(VALU_DEP_1) | instskip(NEXT) | instid1(SALU_CYCLE_1)
	s_and_b32 s19, s19, s18
	s_and_saveexec_b32 s18, s19
	s_cbranch_execz .LBB25_61
; %bb.60:
	s_waitcnt lgkmcnt(0)
	v_bcnt_u32_b32 v3, v3, v83
	ds_store_b32 v85, v3 offset:32
.LBB25_61:
	s_or_b32 exec_lo, exec_lo, s18
	v_xor_b32_e32 v33, 0x80000000, v33
	; wave barrier
	s_delay_alu instid0(VALU_DEP_1) | instskip(NEXT) | instid1(VALU_DEP_1)
	v_lshrrev_b64 v[36:37], s48, v[32:33]
	v_and_b32_e32 v3, s55, v36
	s_delay_alu instid0(VALU_DEP_1)
	v_and_b32_e32 v36, 1, v3
	v_lshlrev_b32_e32 v37, 30, v3
	v_lshlrev_b32_e32 v38, 29, v3
	;; [unrolled: 1-line block ×4, first 2 shown]
	v_add_co_u32 v36, s18, v36, -1
	s_delay_alu instid0(VALU_DEP_1)
	v_cndmask_b32_e64 v40, 0, 1, s18
	v_not_b32_e32 v88, v37
	v_cmp_gt_i32_e64 s19, 0, v37
	v_not_b32_e32 v37, v38
	v_lshlrev_b32_e32 v86, 26, v3
	v_cmp_ne_u32_e64 s18, 0, v40
	v_ashrrev_i32_e32 v88, 31, v88
	v_lshlrev_b32_e32 v87, 25, v3
	v_ashrrev_i32_e32 v37, 31, v37
	v_lshlrev_b32_e32 v40, 24, v3
	v_xor_b32_e32 v36, s18, v36
	v_cmp_gt_i32_e64 s18, 0, v38
	v_not_b32_e32 v38, v39
	v_xor_b32_e32 v88, s19, v88
	v_cmp_gt_i32_e64 s19, 0, v39
	v_and_b32_e32 v36, exec_lo, v36
	v_not_b32_e32 v39, v41
	v_ashrrev_i32_e32 v38, 31, v38
	v_xor_b32_e32 v37, s18, v37
	v_cmp_gt_i32_e64 s18, 0, v41
	v_and_b32_e32 v36, v36, v88
	v_not_b32_e32 v41, v86
	v_ashrrev_i32_e32 v39, 31, v39
	v_xor_b32_e32 v38, s19, v38
	v_cmp_gt_i32_e64 s19, 0, v86
	v_and_b32_e32 v36, v36, v37
	;; [unrolled: 5-line block ×3, first 2 shown]
	v_not_b32_e32 v38, v40
	v_ashrrev_i32_e32 v37, 31, v37
	v_xor_b32_e32 v41, s19, v41
	v_lshl_add_u32 v3, v3, 3, v3
	v_and_b32_e32 v36, v36, v39
	v_cmp_gt_i32_e64 s19, 0, v40
	v_ashrrev_i32_e32 v38, 31, v38
	v_xor_b32_e32 v37, s18, v37
	v_add_lshl_u32 v88, v2, v3, 2
	v_and_b32_e32 v36, v36, v41
	s_delay_alu instid0(VALU_DEP_4) | instskip(SKIP_2) | instid1(VALU_DEP_1)
	v_xor_b32_e32 v3, s19, v38
	ds_load_b32 v86, v88 offset:32
	v_and_b32_e32 v36, v36, v37
	; wave barrier
	v_and_b32_e32 v3, v36, v3
	s_delay_alu instid0(VALU_DEP_1) | instskip(SKIP_1) | instid1(VALU_DEP_2)
	v_mbcnt_lo_u32_b32 v87, v3, 0
	v_cmp_ne_u32_e64 s19, 0, v3
	v_cmp_eq_u32_e64 s18, 0, v87
	s_delay_alu instid0(VALU_DEP_1) | instskip(NEXT) | instid1(SALU_CYCLE_1)
	s_and_b32 s19, s19, s18
	s_and_saveexec_b32 s18, s19
	s_cbranch_execz .LBB25_63
; %bb.62:
	s_waitcnt lgkmcnt(0)
	v_bcnt_u32_b32 v3, v3, v86
	ds_store_b32 v88, v3 offset:32
.LBB25_63:
	s_or_b32 exec_lo, exec_lo, s18
	v_xor_b32_e32 v35, 0x80000000, v35
	; wave barrier
	v_add_nc_u32_e32 v92, 32, v45
	s_delay_alu instid0(VALU_DEP_2) | instskip(NEXT) | instid1(VALU_DEP_1)
	v_lshrrev_b64 v[36:37], s48, v[34:35]
	v_and_b32_e32 v3, s55, v36
	s_delay_alu instid0(VALU_DEP_1)
	v_and_b32_e32 v36, 1, v3
	v_lshlrev_b32_e32 v37, 30, v3
	v_lshlrev_b32_e32 v38, 29, v3
	;; [unrolled: 1-line block ×4, first 2 shown]
	v_add_co_u32 v36, s18, v36, -1
	s_delay_alu instid0(VALU_DEP_1)
	v_cndmask_b32_e64 v40, 0, 1, s18
	v_not_b32_e32 v91, v37
	v_cmp_gt_i32_e64 s19, 0, v37
	v_not_b32_e32 v37, v38
	v_lshlrev_b32_e32 v89, 26, v3
	v_cmp_ne_u32_e64 s18, 0, v40
	v_ashrrev_i32_e32 v91, 31, v91
	v_lshlrev_b32_e32 v90, 25, v3
	v_ashrrev_i32_e32 v37, 31, v37
	v_lshlrev_b32_e32 v40, 24, v3
	v_xor_b32_e32 v36, s18, v36
	v_cmp_gt_i32_e64 s18, 0, v38
	v_not_b32_e32 v38, v39
	v_xor_b32_e32 v91, s19, v91
	v_cmp_gt_i32_e64 s19, 0, v39
	v_and_b32_e32 v36, exec_lo, v36
	v_not_b32_e32 v39, v41
	v_ashrrev_i32_e32 v38, 31, v38
	v_xor_b32_e32 v37, s18, v37
	v_cmp_gt_i32_e64 s18, 0, v41
	v_and_b32_e32 v36, v36, v91
	v_not_b32_e32 v41, v89
	v_ashrrev_i32_e32 v39, 31, v39
	v_xor_b32_e32 v38, s19, v38
	v_cmp_gt_i32_e64 s19, 0, v89
	v_and_b32_e32 v36, v36, v37
	;; [unrolled: 5-line block ×3, first 2 shown]
	v_not_b32_e32 v38, v40
	v_ashrrev_i32_e32 v37, 31, v37
	v_xor_b32_e32 v41, s19, v41
	v_lshl_add_u32 v3, v3, 3, v3
	v_and_b32_e32 v36, v36, v39
	v_cmp_gt_i32_e64 s19, 0, v40
	v_ashrrev_i32_e32 v38, 31, v38
	v_xor_b32_e32 v37, s18, v37
	v_add_lshl_u32 v91, v2, v3, 2
	v_and_b32_e32 v36, v36, v41
	s_delay_alu instid0(VALU_DEP_4) | instskip(SKIP_2) | instid1(VALU_DEP_1)
	v_xor_b32_e32 v2, s19, v38
	ds_load_b32 v89, v91 offset:32
	v_and_b32_e32 v3, v36, v37
	; wave barrier
	v_and_b32_e32 v2, v3, v2
	s_delay_alu instid0(VALU_DEP_1) | instskip(SKIP_1) | instid1(VALU_DEP_2)
	v_mbcnt_lo_u32_b32 v90, v2, 0
	v_cmp_ne_u32_e64 s19, 0, v2
	v_cmp_eq_u32_e64 s18, 0, v90
	s_delay_alu instid0(VALU_DEP_1) | instskip(NEXT) | instid1(SALU_CYCLE_1)
	s_and_b32 s19, s19, s18
	s_and_saveexec_b32 s18, s19
	s_cbranch_execz .LBB25_65
; %bb.64:
	s_waitcnt lgkmcnt(0)
	v_bcnt_u32_b32 v2, v2, v89
	ds_store_b32 v91, v2 offset:32
.LBB25_65:
	s_or_b32 exec_lo, exec_lo, s18
	; wave barrier
	s_waitcnt lgkmcnt(0)
	s_barrier
	buffer_gl0_inv
	ds_load_2addr_b32 v[40:41], v45 offset0:8 offset1:9
	ds_load_2addr_b32 v[38:39], v92 offset0:2 offset1:3
	;; [unrolled: 1-line block ×4, first 2 shown]
	ds_load_b32 v93, v92 offset:32
	v_bfe_i32 v96, v42, 4, 1
	s_mov_b32 s19, exec_lo
	s_waitcnt lgkmcnt(3)
	v_add3_u32 v94, v41, v40, v38
	s_waitcnt lgkmcnt(2)
	s_delay_alu instid0(VALU_DEP_1) | instskip(SKIP_1) | instid1(VALU_DEP_1)
	v_add3_u32 v94, v94, v39, v36
	s_waitcnt lgkmcnt(1)
	v_add3_u32 v94, v94, v37, v2
	s_waitcnt lgkmcnt(0)
	s_delay_alu instid0(VALU_DEP_1) | instskip(SKIP_1) | instid1(VALU_DEP_2)
	v_add3_u32 v93, v94, v3, v93
	v_and_b32_e32 v94, 15, v42
	v_mov_b32_dpp v95, v93 row_shr:1 row_mask:0xf bank_mask:0xf
	s_delay_alu instid0(VALU_DEP_2) | instskip(NEXT) | instid1(VALU_DEP_1)
	v_cmp_ne_u32_e64 s18, 0, v94
	v_cndmask_b32_e64 v95, 0, v95, s18
	v_cmp_lt_u32_e64 s18, 1, v94
	s_delay_alu instid0(VALU_DEP_2) | instskip(NEXT) | instid1(VALU_DEP_1)
	v_add_nc_u32_e32 v93, v95, v93
	v_mov_b32_dpp v95, v93 row_shr:2 row_mask:0xf bank_mask:0xf
	s_delay_alu instid0(VALU_DEP_1) | instskip(SKIP_1) | instid1(VALU_DEP_2)
	v_cndmask_b32_e64 v95, 0, v95, s18
	v_cmp_lt_u32_e64 s18, 3, v94
	v_add_nc_u32_e32 v93, v93, v95
	s_delay_alu instid0(VALU_DEP_1) | instskip(NEXT) | instid1(VALU_DEP_1)
	v_mov_b32_dpp v95, v93 row_shr:4 row_mask:0xf bank_mask:0xf
	v_cndmask_b32_e64 v95, 0, v95, s18
	v_cmp_lt_u32_e64 s18, 7, v94
	s_delay_alu instid0(VALU_DEP_2) | instskip(NEXT) | instid1(VALU_DEP_1)
	v_add_nc_u32_e32 v93, v93, v95
	v_mov_b32_dpp v95, v93 row_shr:8 row_mask:0xf bank_mask:0xf
	s_delay_alu instid0(VALU_DEP_1) | instskip(SKIP_1) | instid1(VALU_DEP_2)
	v_cndmask_b32_e64 v94, 0, v95, s18
	v_and_b32_e32 v95, 0x3e0, v1
	v_add_nc_u32_e32 v93, v93, v94
	s_delay_alu instid0(VALU_DEP_2)
	v_min_u32_e32 v95, 0xe0, v95
	ds_swizzle_b32 v94, v93 offset:swizzle(BROADCAST,32,15)
	v_or_b32_e32 v95, 31, v95
	s_waitcnt lgkmcnt(0)
	v_and_b32_e32 v96, v96, v94
	v_lshrrev_b32_e32 v94, 5, v1
	s_delay_alu instid0(VALU_DEP_2)
	v_add_nc_u32_e32 v93, v93, v96
	v_cmpx_eq_u32_e64 v95, v1
	s_cbranch_execz .LBB25_67
; %bb.66:
	s_delay_alu instid0(VALU_DEP_3)
	v_lshlrev_b32_e32 v95, 2, v94
	ds_store_b32 v95, v93
.LBB25_67:
	s_or_b32 exec_lo, exec_lo, s19
	s_delay_alu instid0(SALU_CYCLE_1)
	s_mov_b32 s19, exec_lo
	s_waitcnt lgkmcnt(0)
	s_barrier
	buffer_gl0_inv
	v_cmpx_gt_u32_e32 8, v1
	s_cbranch_execz .LBB25_69
; %bb.68:
	v_lshlrev_b32_e32 v95, 2, v1
	v_and_b32_e32 v97, 7, v42
	ds_load_b32 v96, v95
	v_cmp_ne_u32_e64 s18, 0, v97
	s_waitcnt lgkmcnt(0)
	v_mov_b32_dpp v98, v96 row_shr:1 row_mask:0xf bank_mask:0xf
	s_delay_alu instid0(VALU_DEP_1) | instskip(SKIP_1) | instid1(VALU_DEP_2)
	v_cndmask_b32_e64 v98, 0, v98, s18
	v_cmp_lt_u32_e64 s18, 1, v97
	v_add_nc_u32_e32 v96, v98, v96
	s_delay_alu instid0(VALU_DEP_1) | instskip(NEXT) | instid1(VALU_DEP_1)
	v_mov_b32_dpp v98, v96 row_shr:2 row_mask:0xf bank_mask:0xf
	v_cndmask_b32_e64 v98, 0, v98, s18
	v_cmp_lt_u32_e64 s18, 3, v97
	s_delay_alu instid0(VALU_DEP_2) | instskip(NEXT) | instid1(VALU_DEP_1)
	v_add_nc_u32_e32 v96, v96, v98
	v_mov_b32_dpp v98, v96 row_shr:4 row_mask:0xf bank_mask:0xf
	s_delay_alu instid0(VALU_DEP_1) | instskip(NEXT) | instid1(VALU_DEP_1)
	v_cndmask_b32_e64 v97, 0, v98, s18
	v_add_nc_u32_e32 v96, v96, v97
	ds_store_b32 v95, v96
.LBB25_69:
	s_or_b32 exec_lo, exec_lo, s19
	v_mov_b32_e32 v95, 0
	s_mov_b32 s19, exec_lo
	s_waitcnt lgkmcnt(0)
	s_barrier
	buffer_gl0_inv
	v_cmpx_lt_u32_e32 31, v1
	s_cbranch_execz .LBB25_71
; %bb.70:
	v_lshl_add_u32 v94, v94, 2, -4
	ds_load_b32 v95, v94
.LBB25_71:
	s_or_b32 exec_lo, exec_lo, s19
	v_add_nc_u32_e32 v94, -1, v42
	s_waitcnt lgkmcnt(0)
	v_add_nc_u32_e32 v93, v95, v93
	s_mov_b32 s19, 0
	s_mov_b32 s20, exec_lo
	v_cmp_gt_i32_e64 s18, 0, v94
	s_delay_alu instid0(VALU_DEP_1) | instskip(SKIP_1) | instid1(VALU_DEP_2)
	v_cndmask_b32_e64 v94, v94, v42, s18
	v_cmp_eq_u32_e64 s18, 0, v42
	v_lshlrev_b32_e32 v94, 2, v94
	ds_bpermute_b32 v93, v94, v93
	s_waitcnt lgkmcnt(0)
	v_cndmask_b32_e64 v93, v93, v95, s18
	v_cmp_ne_u32_e64 s18, 0, v1
	s_delay_alu instid0(VALU_DEP_1) | instskip(NEXT) | instid1(VALU_DEP_1)
	v_cndmask_b32_e64 v93, 0, v93, s18
	v_add_nc_u32_e32 v40, v93, v40
	s_delay_alu instid0(VALU_DEP_1) | instskip(NEXT) | instid1(VALU_DEP_1)
	v_add_nc_u32_e32 v41, v40, v41
	v_add_nc_u32_e32 v38, v41, v38
	s_delay_alu instid0(VALU_DEP_1) | instskip(NEXT) | instid1(VALU_DEP_1)
	v_add_nc_u32_e32 v39, v38, v39
	;; [unrolled: 3-line block ×3, first 2 shown]
	v_add_nc_u32_e32 v2, v37, v2
	s_delay_alu instid0(VALU_DEP_1)
	v_add_nc_u32_e32 v3, v2, v3
	ds_store_2addr_b32 v45, v93, v40 offset0:8 offset1:9
	ds_store_2addr_b32 v92, v41, v38 offset0:2 offset1:3
	;; [unrolled: 1-line block ×4, first 2 shown]
	ds_store_b32 v92, v3 offset:32
	v_mov_b32_e32 v2, 0x1000
	s_waitcnt lgkmcnt(0)
	s_barrier
	buffer_gl0_inv
	ds_load_b32 v37, v49 offset:32
	ds_load_b32 v38, v52 offset:32
	;; [unrolled: 1-line block ×17, first 2 shown]
	v_add_nc_u32_e32 v45, 1, v1
	s_delay_alu instid0(VALU_DEP_1)
	v_cmpx_ne_u32_e32 0x100, v45
	s_cbranch_execz .LBB25_73
; %bb.72:
	v_mul_u32_u24_e32 v2, 9, v45
	s_delay_alu instid0(VALU_DEP_1)
	v_lshlrev_b32_e32 v2, 2, v2
	ds_load_b32 v2, v2 offset:32
.LBB25_73:
	s_or_b32 exec_lo, exec_lo, s20
	s_waitcnt lgkmcnt(1)
	v_add_nc_u32_e32 v36, v36, v44
	v_add3_u32 v37, v48, v47, v37
	v_add3_u32 v38, v51, v50, v38
	;; [unrolled: 1-line block ×4, first 2 shown]
	v_lshlrev_b32_e32 v54, 3, v36
	v_lshlrev_b32_e32 v55, 3, v37
	v_add3_u32 v40, v57, v56, v40
	v_add3_u32 v41, v60, v59, v41
	;; [unrolled: 1-line block ×4, first 2 shown]
	s_waitcnt lgkmcnt(0)
	s_barrier
	buffer_gl0_inv
	ds_store_b64 v54, v[4:5] offset:2048
	ds_store_b64 v55, v[6:7] offset:2048
	v_lshlrev_b32_e32 v4, 3, v38
	v_lshlrev_b32_e32 v5, 3, v39
	v_add3_u32 v47, v72, v71, v58
	v_lshlrev_b32_e32 v6, 3, v40
	v_add3_u32 v48, v75, v74, v61
	;; [unrolled: 2-line block ×4, first 2 shown]
	ds_store_b64 v4, v[8:9] offset:2048
	ds_store_b64 v5, v[10:11] offset:2048
	;; [unrolled: 1-line block ×5, first 2 shown]
	v_lshlrev_b32_e32 v4, 3, v45
	v_add3_u32 v51, v84, v83, v70
	v_lshlrev_b32_e32 v5, 3, v46
	v_lshlrev_b32_e32 v6, 3, v47
	;; [unrolled: 1-line block ×4, first 2 shown]
	ds_store_b64 v4, v[18:19] offset:2048
	ds_store_b64 v5, v[20:21] offset:2048
	;; [unrolled: 1-line block ×5, first 2 shown]
	v_lshlrev_b32_e32 v6, 3, v50
	v_lshl_add_u32 v4, s15, 8, v1
	v_mov_b32_e32 v5, 0
	v_lshlrev_b32_e32 v7, 3, v51
	ds_store_b64 v6, v[28:29] offset:2048
	ds_store_b64 v7, v[30:31] offset:2048
	v_lshlrev_b64 v[6:7], 2, v[4:5]
	v_add3_u32 v52, v87, v86, v73
	v_sub_nc_u32_e32 v10, v2, v3
	v_mov_b32_e32 v2, 0
	v_add3_u32 v53, v90, v89, v76
	s_mov_b32 s20, s54
	v_add_co_u32 v6, s18, s52, v6
	v_lshlrev_b32_e32 v8, 3, v52
	v_add_co_ci_u32_e64 v7, s18, s53, v7, s18
	v_or_b32_e32 v4, 2.0, v10
	v_lshlrev_b32_e32 v9, 3, v53
	ds_store_b64 v8, v[32:33] offset:2048
	ds_store_b64 v9, v[34:35] offset:2048
	s_waitcnt lgkmcnt(0)
	s_barrier
	buffer_gl0_inv
	global_store_b32 v[6:7], v4, off
                                        ; implicit-def: $sgpr18
	s_branch .LBB25_75
	.p2align	6
.LBB25_74:                              ;   in Loop: Header=BB25_75 Depth=1
	s_or_b32 exec_lo, exec_lo, s21
	v_and_b32_e32 v8, 0x3fffffff, v11
	v_cmp_eq_u32_e64 s18, 0x80000000, v4
	s_delay_alu instid0(VALU_DEP_2) | instskip(NEXT) | instid1(VALU_DEP_2)
	v_add_nc_u32_e32 v2, v8, v2
	s_and_b32 s21, exec_lo, s18
	s_delay_alu instid0(SALU_CYCLE_1) | instskip(NEXT) | instid1(SALU_CYCLE_1)
	s_or_b32 s19, s21, s19
	s_and_not1_b32 exec_lo, exec_lo, s19
	s_cbranch_execz .LBB25_81
.LBB25_75:                              ; =>This Loop Header: Depth=1
                                        ;     Child Loop BB25_78 Depth 2
	s_or_b32 s18, s18, exec_lo
	s_cmp_eq_u32 s20, 0
	s_cbranch_scc1 .LBB25_80
; %bb.76:                               ;   in Loop: Header=BB25_75 Depth=1
	s_add_i32 s20, s20, -1
	s_mov_b32 s21, exec_lo
	v_lshl_add_u32 v4, s20, 8, v1
	s_delay_alu instid0(VALU_DEP_1) | instskip(NEXT) | instid1(VALU_DEP_1)
	v_lshlrev_b64 v[8:9], 2, v[4:5]
	v_add_co_u32 v8, s18, s52, v8
	s_delay_alu instid0(VALU_DEP_1) | instskip(SKIP_3) | instid1(VALU_DEP_1)
	v_add_co_ci_u32_e64 v9, s18, s53, v9, s18
	global_load_b32 v11, v[8:9], off glc
	s_waitcnt vmcnt(0)
	v_and_b32_e32 v4, -2.0, v11
	v_cmpx_eq_u32_e32 0, v4
	s_cbranch_execz .LBB25_74
; %bb.77:                               ;   in Loop: Header=BB25_75 Depth=1
	s_mov_b32 s22, 0
.LBB25_78:                              ;   Parent Loop BB25_75 Depth=1
                                        ; =>  This Inner Loop Header: Depth=2
	global_load_b32 v11, v[8:9], off glc
	s_waitcnt vmcnt(0)
	v_and_b32_e32 v4, -2.0, v11
	s_delay_alu instid0(VALU_DEP_1) | instskip(NEXT) | instid1(VALU_DEP_1)
	v_cmp_ne_u32_e64 s18, 0, v4
	s_or_b32 s22, s18, s22
	s_delay_alu instid0(SALU_CYCLE_1)
	s_and_not1_b32 exec_lo, exec_lo, s22
	s_cbranch_execnz .LBB25_78
; %bb.79:                               ;   in Loop: Header=BB25_75 Depth=1
	s_or_b32 exec_lo, exec_lo, s22
	s_branch .LBB25_74
.LBB25_80:                              ;   in Loop: Header=BB25_75 Depth=1
                                        ; implicit-def: $sgpr20
	s_and_b32 s21, exec_lo, s18
	s_delay_alu instid0(SALU_CYCLE_1) | instskip(NEXT) | instid1(SALU_CYCLE_1)
	s_or_b32 s19, s21, s19
	s_and_not1_b32 exec_lo, exec_lo, s19
	s_cbranch_execnz .LBB25_75
.LBB25_81:
	s_or_b32 exec_lo, exec_lo, s19
	v_add_nc_u32_e32 v4, v2, v10
	v_lshlrev_b32_e32 v8, 3, v1
	s_delay_alu instid0(VALU_DEP_2) | instskip(SKIP_3) | instid1(VALU_DEP_1)
	v_or_b32_e32 v4, 0x80000000, v4
	global_store_b32 v[6:7], v4, off
	global_load_b64 v[4:5], v8, s[44:45]
	v_sub_co_u32 v6, s18, v2, v3
	v_sub_co_ci_u32_e64 v7, null, 0, 0, s18
	v_mov_b32_e32 v2, 0
	s_waitcnt vmcnt(0)
	s_delay_alu instid0(VALU_DEP_3) | instskip(NEXT) | instid1(VALU_DEP_1)
	v_add_co_u32 v6, s18, v6, v4
	v_add_co_ci_u32_e64 v7, s18, v7, v5, s18
	v_cmp_gt_u32_e64 s18, s35, v1
	v_mov_b32_e32 v4, v2
	ds_store_b64 v8, v[6:7]
	s_waitcnt lgkmcnt(0)
	s_waitcnt_vscnt null, 0x0
	s_barrier
	buffer_gl0_inv
	s_and_saveexec_b32 s20, s18
	s_cbranch_execz .LBB25_83
; %bb.82:
	ds_load_b64 v[5:6], v8 offset:2048
	s_waitcnt lgkmcnt(0)
	v_lshrrev_b64 v[11:12], s48, v[5:6]
	v_xor_b32_e32 v6, 0x80000000, v6
	s_delay_alu instid0(VALU_DEP_2) | instskip(NEXT) | instid1(VALU_DEP_1)
	v_and_b32_e32 v7, s55, v11
	v_lshlrev_b32_e32 v7, 3, v7
	ds_load_b64 v[11:12], v7
	s_waitcnt lgkmcnt(0)
	v_lshlrev_b64 v[11:12], 3, v[11:12]
	s_delay_alu instid0(VALU_DEP_1) | instskip(NEXT) | instid1(VALU_DEP_1)
	v_add_co_u32 v7, s19, s38, v11
	v_add_co_ci_u32_e64 v9, s19, s39, v12, s19
	s_delay_alu instid0(VALU_DEP_2) | instskip(NEXT) | instid1(VALU_DEP_1)
	v_add_co_u32 v11, s19, v7, v8
	v_add_co_ci_u32_e64 v12, s19, 0, v9, s19
	global_store_b64 v[11:12], v[5:6], off
.LBB25_83:
	s_or_b32 exec_lo, exec_lo, s20
	v_add_nc_u32_e32 v5, 0x100, v1
	s_delay_alu instid0(VALU_DEP_1) | instskip(NEXT) | instid1(VALU_DEP_1)
	v_cmp_gt_u32_e64 s19, s35, v5
	s_and_saveexec_b32 s21, s19
	s_cbranch_execz .LBB25_85
; %bb.84:
	v_lshlrev_b32_e32 v7, 3, v1
	ds_load_b64 v[5:6], v7 offset:4096
	s_waitcnt lgkmcnt(0)
	v_lshrrev_b64 v[11:12], s48, v[5:6]
	v_xor_b32_e32 v6, 0x80000000, v6
	s_delay_alu instid0(VALU_DEP_2) | instskip(NEXT) | instid1(VALU_DEP_1)
	v_and_b32_e32 v9, s55, v11
	v_lshlrev_b32_e32 v9, 3, v9
	ds_load_b64 v[11:12], v9
	s_waitcnt lgkmcnt(0)
	v_lshlrev_b64 v[11:12], 3, v[11:12]
	s_delay_alu instid0(VALU_DEP_1) | instskip(NEXT) | instid1(VALU_DEP_1)
	v_add_co_u32 v9, s20, s38, v11
	v_add_co_ci_u32_e64 v12, s20, s39, v12, s20
	s_delay_alu instid0(VALU_DEP_2) | instskip(NEXT) | instid1(VALU_DEP_1)
	v_add_co_u32 v11, s20, v9, v7
	v_add_co_ci_u32_e64 v12, s20, 0, v12, s20
	global_store_b64 v[11:12], v[5:6], off offset:2048
.LBB25_85:
	s_or_b32 exec_lo, exec_lo, s21
	v_add_nc_u32_e32 v5, 0x200, v1
	s_delay_alu instid0(VALU_DEP_1) | instskip(NEXT) | instid1(VALU_DEP_1)
	v_cmp_gt_u32_e64 s20, s35, v5
	s_and_saveexec_b32 s22, s20
	s_cbranch_execz .LBB25_87
; %bb.86:
	v_lshlrev_b32_e32 v6, 3, v1
	v_lshlrev_b32_e32 v5, 3, v5
	ds_load_b64 v[6:7], v6 offset:6144
	s_waitcnt lgkmcnt(0)
	v_lshrrev_b64 v[11:12], s48, v[6:7]
	v_xor_b32_e32 v7, 0x80000000, v7
	s_delay_alu instid0(VALU_DEP_2) | instskip(NEXT) | instid1(VALU_DEP_1)
	v_and_b32_e32 v9, s55, v11
	v_lshlrev_b32_e32 v9, 3, v9
	ds_load_b64 v[11:12], v9
	s_waitcnt lgkmcnt(0)
	v_lshlrev_b64 v[11:12], 3, v[11:12]
	s_delay_alu instid0(VALU_DEP_1) | instskip(NEXT) | instid1(VALU_DEP_1)
	v_add_co_u32 v9, s21, s38, v11
	v_add_co_ci_u32_e64 v12, s21, s39, v12, s21
	s_delay_alu instid0(VALU_DEP_2) | instskip(NEXT) | instid1(VALU_DEP_1)
	v_add_co_u32 v11, s21, v9, v5
	v_add_co_ci_u32_e64 v12, s21, 0, v12, s21
	global_store_b64 v[11:12], v[6:7], off
.LBB25_87:
	s_or_b32 exec_lo, exec_lo, s22
	v_add_nc_u32_e32 v5, 0x300, v1
	s_delay_alu instid0(VALU_DEP_1) | instskip(NEXT) | instid1(VALU_DEP_1)
	v_cmp_gt_u32_e64 s21, s35, v5
	s_and_saveexec_b32 s23, s21
	s_cbranch_execz .LBB25_89
; %bb.88:
	v_lshlrev_b32_e32 v6, 3, v1
	v_lshlrev_b32_e32 v5, 3, v5
	ds_load_b64 v[6:7], v6 offset:8192
	s_waitcnt lgkmcnt(0)
	v_lshrrev_b64 v[11:12], s48, v[6:7]
	v_xor_b32_e32 v7, 0x80000000, v7
	s_delay_alu instid0(VALU_DEP_2) | instskip(NEXT) | instid1(VALU_DEP_1)
	v_and_b32_e32 v9, s55, v11
	v_lshlrev_b32_e32 v9, 3, v9
	ds_load_b64 v[11:12], v9
	s_waitcnt lgkmcnt(0)
	v_lshlrev_b64 v[11:12], 3, v[11:12]
	s_delay_alu instid0(VALU_DEP_1) | instskip(NEXT) | instid1(VALU_DEP_1)
	v_add_co_u32 v9, s22, s38, v11
	v_add_co_ci_u32_e64 v12, s22, s39, v12, s22
	s_delay_alu instid0(VALU_DEP_2) | instskip(NEXT) | instid1(VALU_DEP_1)
	v_add_co_u32 v11, s22, v9, v5
	v_add_co_ci_u32_e64 v12, s22, 0, v12, s22
	global_store_b64 v[11:12], v[6:7], off
.LBB25_89:
	s_or_b32 exec_lo, exec_lo, s23
	v_or_b32_e32 v5, 0x400, v1
	s_delay_alu instid0(VALU_DEP_1) | instskip(NEXT) | instid1(VALU_DEP_1)
	v_cmp_gt_u32_e64 s22, s35, v5
	s_and_saveexec_b32 s24, s22
	s_cbranch_execz .LBB25_91
; %bb.90:
	v_lshlrev_b32_e32 v6, 3, v1
	v_lshlrev_b32_e32 v5, 3, v5
	ds_load_b64 v[6:7], v6 offset:10240
	s_waitcnt lgkmcnt(0)
	v_lshrrev_b64 v[11:12], s48, v[6:7]
	v_xor_b32_e32 v7, 0x80000000, v7
	s_delay_alu instid0(VALU_DEP_2) | instskip(NEXT) | instid1(VALU_DEP_1)
	v_and_b32_e32 v9, s55, v11
	v_lshlrev_b32_e32 v9, 3, v9
	ds_load_b64 v[11:12], v9
	s_waitcnt lgkmcnt(0)
	v_lshlrev_b64 v[11:12], 3, v[11:12]
	s_delay_alu instid0(VALU_DEP_1) | instskip(NEXT) | instid1(VALU_DEP_1)
	v_add_co_u32 v9, s23, s38, v11
	v_add_co_ci_u32_e64 v12, s23, s39, v12, s23
	s_delay_alu instid0(VALU_DEP_2) | instskip(NEXT) | instid1(VALU_DEP_1)
	v_add_co_u32 v11, s23, v9, v5
	v_add_co_ci_u32_e64 v12, s23, 0, v12, s23
	global_store_b64 v[11:12], v[6:7], off
.LBB25_91:
	s_or_b32 exec_lo, exec_lo, s24
	v_add_nc_u32_e32 v5, 0x500, v1
	s_delay_alu instid0(VALU_DEP_1) | instskip(NEXT) | instid1(VALU_DEP_1)
	v_cmp_gt_u32_e64 s23, s35, v5
	s_and_saveexec_b32 s25, s23
	s_cbranch_execz .LBB25_93
; %bb.92:
	v_lshlrev_b32_e32 v6, 3, v1
	v_lshlrev_b32_e32 v5, 3, v5
	ds_load_b64 v[6:7], v6 offset:12288
	s_waitcnt lgkmcnt(0)
	v_lshrrev_b64 v[11:12], s48, v[6:7]
	v_xor_b32_e32 v7, 0x80000000, v7
	s_delay_alu instid0(VALU_DEP_2) | instskip(NEXT) | instid1(VALU_DEP_1)
	v_and_b32_e32 v9, s55, v11
	v_lshlrev_b32_e32 v9, 3, v9
	ds_load_b64 v[11:12], v9
	s_waitcnt lgkmcnt(0)
	v_lshlrev_b64 v[11:12], 3, v[11:12]
	s_delay_alu instid0(VALU_DEP_1) | instskip(NEXT) | instid1(VALU_DEP_1)
	v_add_co_u32 v9, s24, s38, v11
	v_add_co_ci_u32_e64 v12, s24, s39, v12, s24
	s_delay_alu instid0(VALU_DEP_2) | instskip(NEXT) | instid1(VALU_DEP_1)
	v_add_co_u32 v11, s24, v9, v5
	v_add_co_ci_u32_e64 v12, s24, 0, v12, s24
	global_store_b64 v[11:12], v[6:7], off
.LBB25_93:
	s_or_b32 exec_lo, exec_lo, s25
	v_add_nc_u32_e32 v5, 0x600, v1
	;; [unrolled: 27-line block ×3, first 2 shown]
	s_delay_alu instid0(VALU_DEP_1) | instskip(NEXT) | instid1(VALU_DEP_1)
	v_cmp_gt_u32_e64 s25, s35, v5
	s_and_saveexec_b32 s27, s25
	s_cbranch_execz .LBB25_97
; %bb.96:
	v_lshlrev_b32_e32 v6, 3, v1
	v_lshlrev_b32_e32 v5, 3, v5
	ds_load_b64 v[6:7], v6 offset:16384
	s_waitcnt lgkmcnt(0)
	v_lshrrev_b64 v[11:12], s48, v[6:7]
	v_xor_b32_e32 v7, 0x80000000, v7
	s_delay_alu instid0(VALU_DEP_2) | instskip(NEXT) | instid1(VALU_DEP_1)
	v_and_b32_e32 v9, s55, v11
	v_lshlrev_b32_e32 v9, 3, v9
	ds_load_b64 v[11:12], v9
	s_waitcnt lgkmcnt(0)
	v_lshlrev_b64 v[11:12], 3, v[11:12]
	s_delay_alu instid0(VALU_DEP_1) | instskip(NEXT) | instid1(VALU_DEP_1)
	v_add_co_u32 v9, s26, s38, v11
	v_add_co_ci_u32_e64 v12, s26, s39, v12, s26
	s_delay_alu instid0(VALU_DEP_2) | instskip(NEXT) | instid1(VALU_DEP_1)
	v_add_co_u32 v11, s26, v9, v5
	v_add_co_ci_u32_e64 v12, s26, 0, v12, s26
	global_store_b64 v[11:12], v[6:7], off
.LBB25_97:
	s_or_b32 exec_lo, exec_lo, s27
	v_or_b32_e32 v5, 0x800, v1
	s_delay_alu instid0(VALU_DEP_1) | instskip(NEXT) | instid1(VALU_DEP_1)
	v_cmp_gt_u32_e64 s26, s35, v5
	s_and_saveexec_b32 s28, s26
	s_cbranch_execz .LBB25_99
; %bb.98:
	v_lshlrev_b32_e32 v6, 3, v1
	v_lshlrev_b32_e32 v5, 3, v5
	ds_load_b64 v[6:7], v6 offset:18432
	s_waitcnt lgkmcnt(0)
	v_lshrrev_b64 v[11:12], s48, v[6:7]
	v_xor_b32_e32 v7, 0x80000000, v7
	s_delay_alu instid0(VALU_DEP_2) | instskip(NEXT) | instid1(VALU_DEP_1)
	v_and_b32_e32 v9, s55, v11
	v_lshlrev_b32_e32 v9, 3, v9
	ds_load_b64 v[11:12], v9
	s_waitcnt lgkmcnt(0)
	v_lshlrev_b64 v[11:12], 3, v[11:12]
	s_delay_alu instid0(VALU_DEP_1) | instskip(NEXT) | instid1(VALU_DEP_1)
	v_add_co_u32 v9, s27, s38, v11
	v_add_co_ci_u32_e64 v12, s27, s39, v12, s27
	s_delay_alu instid0(VALU_DEP_2) | instskip(NEXT) | instid1(VALU_DEP_1)
	v_add_co_u32 v11, s27, v9, v5
	v_add_co_ci_u32_e64 v12, s27, 0, v12, s27
	global_store_b64 v[11:12], v[6:7], off
.LBB25_99:
	s_or_b32 exec_lo, exec_lo, s28
	v_add_nc_u32_e32 v5, 0x900, v1
	s_delay_alu instid0(VALU_DEP_1) | instskip(NEXT) | instid1(VALU_DEP_1)
	v_cmp_gt_u32_e64 s27, s35, v5
	s_and_saveexec_b32 s29, s27
	s_cbranch_execz .LBB25_101
; %bb.100:
	v_lshlrev_b32_e32 v6, 3, v1
	v_lshlrev_b32_e32 v5, 3, v5
	ds_load_b64 v[6:7], v6 offset:20480
	s_waitcnt lgkmcnt(0)
	v_lshrrev_b64 v[11:12], s48, v[6:7]
	v_xor_b32_e32 v7, 0x80000000, v7
	s_delay_alu instid0(VALU_DEP_2) | instskip(NEXT) | instid1(VALU_DEP_1)
	v_and_b32_e32 v9, s55, v11
	v_lshlrev_b32_e32 v9, 3, v9
	ds_load_b64 v[11:12], v9
	s_waitcnt lgkmcnt(0)
	v_lshlrev_b64 v[11:12], 3, v[11:12]
	s_delay_alu instid0(VALU_DEP_1) | instskip(NEXT) | instid1(VALU_DEP_1)
	v_add_co_u32 v9, s28, s38, v11
	v_add_co_ci_u32_e64 v12, s28, s39, v12, s28
	s_delay_alu instid0(VALU_DEP_2) | instskip(NEXT) | instid1(VALU_DEP_1)
	v_add_co_u32 v11, s28, v9, v5
	v_add_co_ci_u32_e64 v12, s28, 0, v12, s28
	global_store_b64 v[11:12], v[6:7], off
.LBB25_101:
	s_or_b32 exec_lo, exec_lo, s29
	v_add_nc_u32_e32 v5, 0xa00, v1
	;; [unrolled: 27-line block ×3, first 2 shown]
	s_delay_alu instid0(VALU_DEP_1) | instskip(NEXT) | instid1(VALU_DEP_1)
	v_cmp_gt_u32_e64 s29, s35, v5
	s_and_saveexec_b32 s31, s29
	s_cbranch_execz .LBB25_105
; %bb.104:
	v_lshlrev_b32_e32 v6, 3, v1
	v_lshlrev_b32_e32 v5, 3, v5
	ds_load_b64 v[6:7], v6 offset:24576
	s_waitcnt lgkmcnt(0)
	v_lshrrev_b64 v[11:12], s48, v[6:7]
	v_xor_b32_e32 v7, 0x80000000, v7
	s_delay_alu instid0(VALU_DEP_2) | instskip(NEXT) | instid1(VALU_DEP_1)
	v_and_b32_e32 v9, s55, v11
	v_lshlrev_b32_e32 v9, 3, v9
	ds_load_b64 v[11:12], v9
	s_waitcnt lgkmcnt(0)
	v_lshlrev_b64 v[11:12], 3, v[11:12]
	s_delay_alu instid0(VALU_DEP_1) | instskip(NEXT) | instid1(VALU_DEP_1)
	v_add_co_u32 v9, s30, s38, v11
	v_add_co_ci_u32_e64 v12, s30, s39, v12, s30
	s_delay_alu instid0(VALU_DEP_2) | instskip(NEXT) | instid1(VALU_DEP_1)
	v_add_co_u32 v11, s30, v9, v5
	v_add_co_ci_u32_e64 v12, s30, 0, v12, s30
	global_store_b64 v[11:12], v[6:7], off
.LBB25_105:
	s_or_b32 exec_lo, exec_lo, s31
	v_or_b32_e32 v5, 0xc00, v1
	s_delay_alu instid0(VALU_DEP_1) | instskip(NEXT) | instid1(VALU_DEP_1)
	v_cmp_gt_u32_e64 s30, s35, v5
	s_and_saveexec_b32 s33, s30
	s_cbranch_execz .LBB25_107
; %bb.106:
	v_lshlrev_b32_e32 v6, 3, v1
	v_lshlrev_b32_e32 v5, 3, v5
	ds_load_b64 v[6:7], v6 offset:26624
	s_waitcnt lgkmcnt(0)
	v_lshrrev_b64 v[11:12], s48, v[6:7]
	v_xor_b32_e32 v7, 0x80000000, v7
	s_delay_alu instid0(VALU_DEP_2) | instskip(NEXT) | instid1(VALU_DEP_1)
	v_and_b32_e32 v9, s55, v11
	v_lshlrev_b32_e32 v9, 3, v9
	ds_load_b64 v[11:12], v9
	s_waitcnt lgkmcnt(0)
	v_lshlrev_b64 v[11:12], 3, v[11:12]
	s_delay_alu instid0(VALU_DEP_1) | instskip(NEXT) | instid1(VALU_DEP_1)
	v_add_co_u32 v9, s31, s38, v11
	v_add_co_ci_u32_e64 v12, s31, s39, v12, s31
	s_delay_alu instid0(VALU_DEP_2) | instskip(NEXT) | instid1(VALU_DEP_1)
	v_add_co_u32 v11, s31, v9, v5
	v_add_co_ci_u32_e64 v12, s31, 0, v12, s31
	global_store_b64 v[11:12], v[6:7], off
.LBB25_107:
	s_or_b32 exec_lo, exec_lo, s33
	v_add_nc_u32_e32 v5, 0xd00, v1
	s_delay_alu instid0(VALU_DEP_1) | instskip(NEXT) | instid1(VALU_DEP_1)
	v_cmp_gt_u32_e64 s31, s35, v5
	s_and_saveexec_b32 s34, s31
	s_cbranch_execz .LBB25_109
; %bb.108:
	v_lshlrev_b32_e32 v6, 3, v1
	v_lshlrev_b32_e32 v5, 3, v5
	ds_load_b64 v[6:7], v6 offset:28672
	s_waitcnt lgkmcnt(0)
	v_lshrrev_b64 v[11:12], s48, v[6:7]
	v_xor_b32_e32 v7, 0x80000000, v7
	s_delay_alu instid0(VALU_DEP_2) | instskip(NEXT) | instid1(VALU_DEP_1)
	v_and_b32_e32 v9, s55, v11
	v_lshlrev_b32_e32 v9, 3, v9
	ds_load_b64 v[11:12], v9
	s_waitcnt lgkmcnt(0)
	v_lshlrev_b64 v[11:12], 3, v[11:12]
	s_delay_alu instid0(VALU_DEP_1) | instskip(NEXT) | instid1(VALU_DEP_1)
	v_add_co_u32 v9, s33, s38, v11
	v_add_co_ci_u32_e64 v12, s33, s39, v12, s33
	s_delay_alu instid0(VALU_DEP_2) | instskip(NEXT) | instid1(VALU_DEP_1)
	v_add_co_u32 v11, s33, v9, v5
	v_add_co_ci_u32_e64 v12, s33, 0, v12, s33
	global_store_b64 v[11:12], v[6:7], off
.LBB25_109:
	s_or_b32 exec_lo, exec_lo, s34
	v_add_nc_u32_e32 v5, 0xe00, v1
	;; [unrolled: 27-line block ×3, first 2 shown]
	s_delay_alu instid0(VALU_DEP_1) | instskip(NEXT) | instid1(VALU_DEP_1)
	v_cmp_gt_u32_e64 s34, s35, v5
	s_and_saveexec_b32 s56, s34
	s_cbranch_execz .LBB25_113
; %bb.112:
	v_lshlrev_b32_e32 v6, 3, v1
	v_lshlrev_b32_e32 v5, 3, v5
	ds_load_b64 v[6:7], v6 offset:32768
	s_waitcnt lgkmcnt(0)
	v_lshrrev_b64 v[11:12], s48, v[6:7]
	v_xor_b32_e32 v7, 0x80000000, v7
	s_delay_alu instid0(VALU_DEP_2) | instskip(NEXT) | instid1(VALU_DEP_1)
	v_and_b32_e32 v9, s55, v11
	v_lshlrev_b32_e32 v9, 3, v9
	ds_load_b64 v[11:12], v9
	s_waitcnt lgkmcnt(0)
	v_lshlrev_b64 v[11:12], 3, v[11:12]
	s_delay_alu instid0(VALU_DEP_1) | instskip(NEXT) | instid1(VALU_DEP_1)
	v_add_co_u32 v9, s35, s38, v11
	v_add_co_ci_u32_e64 v12, s35, s39, v12, s35
	s_delay_alu instid0(VALU_DEP_2) | instskip(NEXT) | instid1(VALU_DEP_1)
	v_add_co_u32 v11, s35, v9, v5
	v_add_co_ci_u32_e64 v12, s35, 0, v12, s35
	global_store_b64 v[11:12], v[6:7], off
.LBB25_113:
	s_or_b32 exec_lo, exec_lo, s56
	s_add_u32 s35, s40, s50
	s_addc_u32 s50, s41, 0
	v_add_co_u32 v5, s35, s35, v42
	s_delay_alu instid0(VALU_DEP_1) | instskip(NEXT) | instid1(VALU_DEP_2)
	v_add_co_ci_u32_e64 v6, null, s50, 0, s35
                                        ; implicit-def: $vgpr7
	v_add_co_u32 v5, s35, v5, v43
	s_delay_alu instid0(VALU_DEP_1) | instskip(SKIP_1) | instid1(SALU_CYCLE_1)
	v_add_co_ci_u32_e64 v6, s35, 0, v6, s35
	s_and_saveexec_b32 s35, vcc_lo
	s_xor_b32 s35, exec_lo, s35
	s_cbranch_execnz .LBB25_217
; %bb.114:
	s_or_b32 exec_lo, exec_lo, s35
                                        ; implicit-def: $vgpr9
	s_and_saveexec_b32 s35, s2
	s_cbranch_execnz .LBB25_218
.LBB25_115:
	s_or_b32 exec_lo, exec_lo, s35
                                        ; implicit-def: $vgpr11
	s_and_saveexec_b32 s2, s3
	s_cbranch_execnz .LBB25_219
.LBB25_116:
	s_or_b32 exec_lo, exec_lo, s2
                                        ; implicit-def: $vgpr12
	s_and_saveexec_b32 s2, s4
	s_cbranch_execnz .LBB25_220
.LBB25_117:
	s_or_b32 exec_lo, exec_lo, s2
                                        ; implicit-def: $vgpr13
	s_and_saveexec_b32 s2, s5
	s_cbranch_execnz .LBB25_221
.LBB25_118:
	s_or_b32 exec_lo, exec_lo, s2
                                        ; implicit-def: $vgpr14
	s_and_saveexec_b32 s2, s6
	s_cbranch_execnz .LBB25_222
.LBB25_119:
	s_or_b32 exec_lo, exec_lo, s2
                                        ; implicit-def: $vgpr15
	s_and_saveexec_b32 s2, s7
	s_cbranch_execnz .LBB25_223
.LBB25_120:
	s_or_b32 exec_lo, exec_lo, s2
                                        ; implicit-def: $vgpr16
	s_and_saveexec_b32 s2, s8
	s_cbranch_execnz .LBB25_224
.LBB25_121:
	s_or_b32 exec_lo, exec_lo, s2
                                        ; implicit-def: $vgpr17
	s_and_saveexec_b32 s2, s9
	s_cbranch_execnz .LBB25_225
.LBB25_122:
	s_or_b32 exec_lo, exec_lo, s2
                                        ; implicit-def: $vgpr18
	s_and_saveexec_b32 s2, s10
	s_cbranch_execnz .LBB25_226
.LBB25_123:
	s_or_b32 exec_lo, exec_lo, s2
                                        ; implicit-def: $vgpr19
	s_and_saveexec_b32 s2, s11
	s_cbranch_execnz .LBB25_227
.LBB25_124:
	s_or_b32 exec_lo, exec_lo, s2
                                        ; implicit-def: $vgpr22
	s_and_saveexec_b32 s2, s12
	s_cbranch_execnz .LBB25_228
.LBB25_125:
	s_or_b32 exec_lo, exec_lo, s2
                                        ; implicit-def: $vgpr25
	s_and_saveexec_b32 s2, s13
	s_cbranch_execnz .LBB25_229
.LBB25_126:
	s_or_b32 exec_lo, exec_lo, s2
                                        ; implicit-def: $vgpr29
	s_and_saveexec_b32 s2, s14
	s_cbranch_execnz .LBB25_230
.LBB25_127:
	s_or_b32 exec_lo, exec_lo, s2
                                        ; implicit-def: $vgpr33
	s_and_saveexec_b32 s2, s16
	s_cbranch_execnz .LBB25_231
.LBB25_128:
	s_or_b32 exec_lo, exec_lo, s2
                                        ; implicit-def: $vgpr54
	s_and_saveexec_b32 s2, s17
	s_cbranch_execnz .LBB25_232
.LBB25_129:
	s_or_b32 exec_lo, exec_lo, s2
                                        ; implicit-def: $vgpr55
	s_and_saveexec_b32 s2, s18
	s_cbranch_execnz .LBB25_233
.LBB25_130:
	s_or_b32 exec_lo, exec_lo, s2
                                        ; implicit-def: $vgpr43
	s_and_saveexec_b32 s2, s19
	s_cbranch_execnz .LBB25_234
.LBB25_131:
	s_or_b32 exec_lo, exec_lo, s2
                                        ; implicit-def: $vgpr35
	s_and_saveexec_b32 s2, s20
	s_cbranch_execnz .LBB25_235
.LBB25_132:
	s_or_b32 exec_lo, exec_lo, s2
                                        ; implicit-def: $vgpr34
	s_and_saveexec_b32 s2, s21
	s_cbranch_execnz .LBB25_236
.LBB25_133:
	s_or_b32 exec_lo, exec_lo, s2
                                        ; implicit-def: $vgpr32
	s_and_saveexec_b32 s2, s22
	s_cbranch_execnz .LBB25_237
.LBB25_134:
	s_or_b32 exec_lo, exec_lo, s2
                                        ; implicit-def: $vgpr31
	s_and_saveexec_b32 s2, s23
	s_cbranch_execnz .LBB25_238
.LBB25_135:
	s_or_b32 exec_lo, exec_lo, s2
                                        ; implicit-def: $vgpr30
	s_and_saveexec_b32 s2, s24
	s_cbranch_execnz .LBB25_239
.LBB25_136:
	s_or_b32 exec_lo, exec_lo, s2
                                        ; implicit-def: $vgpr28
	s_and_saveexec_b32 s2, s25
	s_cbranch_execnz .LBB25_240
.LBB25_137:
	s_or_b32 exec_lo, exec_lo, s2
                                        ; implicit-def: $vgpr27
	s_and_saveexec_b32 s2, s26
	s_cbranch_execnz .LBB25_241
.LBB25_138:
	s_or_b32 exec_lo, exec_lo, s2
                                        ; implicit-def: $vgpr26
	s_and_saveexec_b32 s2, s27
	s_cbranch_execnz .LBB25_242
.LBB25_139:
	s_or_b32 exec_lo, exec_lo, s2
                                        ; implicit-def: $vgpr24
	s_and_saveexec_b32 s2, s28
	s_cbranch_execnz .LBB25_243
.LBB25_140:
	s_or_b32 exec_lo, exec_lo, s2
                                        ; implicit-def: $vgpr23
	s_and_saveexec_b32 s2, s29
	s_cbranch_execnz .LBB25_244
.LBB25_141:
	s_or_b32 exec_lo, exec_lo, s2
                                        ; implicit-def: $vgpr21
	s_and_saveexec_b32 s2, s30
	s_cbranch_execnz .LBB25_245
.LBB25_142:
	s_or_b32 exec_lo, exec_lo, s2
                                        ; implicit-def: $vgpr20
	s_and_saveexec_b32 s2, s31
	s_cbranch_execnz .LBB25_246
.LBB25_143:
	s_or_b32 exec_lo, exec_lo, s2
                                        ; implicit-def: $vgpr6
	s_and_saveexec_b32 s2, s33
	s_cbranch_execnz .LBB25_247
.LBB25_144:
	s_or_b32 exec_lo, exec_lo, s2
                                        ; implicit-def: $vgpr5
	s_and_saveexec_b32 s2, s34
	s_cbranch_execz .LBB25_146
.LBB25_145:
	v_lshlrev_b32_e32 v5, 3, v1
	ds_load_b64 v[56:57], v5 offset:32768
	s_waitcnt lgkmcnt(0)
	v_lshrrev_b64 v[56:57], s48, v[56:57]
	s_delay_alu instid0(VALU_DEP_1)
	v_and_b32_e32 v5, s55, v56
.LBB25_146:
	s_or_b32 exec_lo, exec_lo, s2
	s_waitcnt vmcnt(0)
	s_waitcnt_vscnt null, 0x0
	s_barrier
	buffer_gl0_inv
	ds_store_b8 v36, v7 offset:2048
	ds_store_b8 v37, v9 offset:2048
	;; [unrolled: 1-line block ×16, first 2 shown]
	s_waitcnt lgkmcnt(0)
	s_barrier
	buffer_gl0_inv
	s_and_saveexec_b32 s2, s18
	s_cbranch_execnz .LBB25_248
; %bb.147:
	s_or_b32 exec_lo, exec_lo, s2
	s_and_saveexec_b32 s2, s19
	s_cbranch_execnz .LBB25_249
.LBB25_148:
	s_or_b32 exec_lo, exec_lo, s2
	s_and_saveexec_b32 s2, s20
	s_cbranch_execnz .LBB25_250
.LBB25_149:
	s_or_b32 exec_lo, exec_lo, s2
	s_and_saveexec_b32 s2, s21
	s_cbranch_execnz .LBB25_251
.LBB25_150:
	s_or_b32 exec_lo, exec_lo, s2
	s_and_saveexec_b32 s2, s22
	s_cbranch_execnz .LBB25_252
.LBB25_151:
	s_or_b32 exec_lo, exec_lo, s2
	s_and_saveexec_b32 s2, s23
	s_cbranch_execnz .LBB25_253
.LBB25_152:
	s_or_b32 exec_lo, exec_lo, s2
	s_and_saveexec_b32 s2, s24
	s_cbranch_execnz .LBB25_254
.LBB25_153:
	s_or_b32 exec_lo, exec_lo, s2
	s_and_saveexec_b32 s2, s25
	s_cbranch_execnz .LBB25_255
.LBB25_154:
	s_or_b32 exec_lo, exec_lo, s2
	s_and_saveexec_b32 s2, s26
	s_cbranch_execnz .LBB25_256
.LBB25_155:
	s_or_b32 exec_lo, exec_lo, s2
	s_and_saveexec_b32 s2, s27
	s_cbranch_execnz .LBB25_257
.LBB25_156:
	s_or_b32 exec_lo, exec_lo, s2
	s_and_saveexec_b32 s2, s28
	s_cbranch_execnz .LBB25_258
.LBB25_157:
	s_or_b32 exec_lo, exec_lo, s2
	s_and_saveexec_b32 s2, s29
	s_cbranch_execnz .LBB25_259
.LBB25_158:
	s_or_b32 exec_lo, exec_lo, s2
	s_and_saveexec_b32 s2, s30
	s_cbranch_execnz .LBB25_260
.LBB25_159:
	s_or_b32 exec_lo, exec_lo, s2
	s_and_saveexec_b32 s2, s31
	s_cbranch_execnz .LBB25_261
.LBB25_160:
	s_or_b32 exec_lo, exec_lo, s2
	s_and_saveexec_b32 s2, s33
	s_cbranch_execnz .LBB25_262
.LBB25_161:
	s_or_b32 exec_lo, exec_lo, s2
	s_and_saveexec_b32 s2, s34
	s_cbranch_execz .LBB25_163
.LBB25_162:
	v_lshlrev_b32_e32 v5, 3, v5
	ds_load_b64 v[5:6], v5
	ds_load_u8 v7, v1 offset:5888
	s_waitcnt lgkmcnt(1)
	v_add_co_u32 v5, vcc_lo, s42, v5
	v_add_co_ci_u32_e32 v6, vcc_lo, s43, v6, vcc_lo
	s_delay_alu instid0(VALU_DEP_2) | instskip(NEXT) | instid1(VALU_DEP_2)
	v_add_co_u32 v5, vcc_lo, v5, v1
	v_add_co_ci_u32_e32 v6, vcc_lo, 0, v6, vcc_lo
	s_waitcnt lgkmcnt(0)
	global_store_b8 v[5:6], v7, off offset:3840
.LBB25_163:
	s_or_b32 exec_lo, exec_lo, s2
	s_add_i32 s51, s51, -1
	s_delay_alu instid0(SALU_CYCLE_1)
	s_cmp_eq_u32 s15, s51
	s_cselect_b32 s2, -1, 0
	s_branch .LBB25_214
.LBB25_164:
	s_mov_b32 s2, 0
                                        ; implicit-def: $vgpr8
                                        ; implicit-def: $vgpr3_vgpr4
                                        ; implicit-def: $vgpr10
	s_cbranch_execz .LBB25_214
; %bb.165:
	v_lshlrev_b32_e32 v2, 4, v1
	s_lshl_b32 s2, s15, 12
	s_mov_b32 s3, 0
	v_mov_b32_e32 v36, 0
	s_lshl_b64 s[4:5], s[2:3], 3
	v_and_b32_e32 v43, 0xe00, v2
	v_lshlrev_b32_e32 v2, 3, v42
	s_add_u32 s3, s36, s4
	s_addc_u32 s4, s37, s5
	s_delay_alu instid0(VALU_DEP_2) | instskip(NEXT) | instid1(VALU_DEP_2)
	v_lshlrev_b32_e32 v3, 3, v43
	v_add_co_u32 v2, s3, s3, v2
	s_delay_alu instid0(VALU_DEP_1) | instskip(NEXT) | instid1(VALU_DEP_2)
	v_add_co_ci_u32_e64 v4, null, s4, 0, s3
	v_add_co_u32 v2, vcc_lo, v2, v3
	s_delay_alu instid0(VALU_DEP_2)
	v_add_co_ci_u32_e32 v3, vcc_lo, 0, v4, vcc_lo
	global_load_b64 v[12:13], v[2:3], off
	s_clause 0x1
	s_load_b32 s4, s[0:1], 0x5c
	s_load_b32 s3, s[0:1], 0x50
	s_add_u32 s0, s0, 0x50
	s_addc_u32 s1, s1, 0
	s_waitcnt lgkmcnt(0)
	s_lshr_b32 s4, s4, 16
	s_cmp_lt_u32 s15, s3
	s_cselect_b32 s5, 12, 18
	s_delay_alu instid0(SALU_CYCLE_1)
	s_add_u32 s0, s0, s5
	s_addc_u32 s1, s1, 0
	global_load_u16 v37, v36, s[0:1]
	s_clause 0xe
	global_load_b64 v[34:35], v[2:3], off offset:256
	global_load_b64 v[32:33], v[2:3], off offset:512
	;; [unrolled: 1-line block ×15, first 2 shown]
	s_lshl_b32 s0, -1, s49
	s_delay_alu instid0(SALU_CYCLE_1) | instskip(SKIP_2) | instid1(VALU_DEP_1)
	s_not_b32 s1, s0
	s_waitcnt vmcnt(16)
	v_xor_b32_e32 v13, 0x80000000, v13
	v_lshrrev_b64 v[2:3], s48, v[12:13]
	s_delay_alu instid0(VALU_DEP_1) | instskip(SKIP_2) | instid1(VALU_DEP_3)
	v_and_b32_e32 v38, s1, v2
	v_bfe_u32 v2, v0, 10, 10
	v_bfe_u32 v0, v0, 20, 10
	v_and_b32_e32 v3, 1, v38
	v_lshlrev_b32_e32 v39, 30, v38
	v_lshlrev_b32_e32 v40, 29, v38
	;; [unrolled: 1-line block ×4, first 2 shown]
	v_add_co_u32 v3, s0, v3, -1
	s_delay_alu instid0(VALU_DEP_1)
	v_cndmask_b32_e64 v44, 0, 1, s0
	v_not_b32_e32 v48, v39
	v_cmp_gt_i32_e64 s0, 0, v39
	v_not_b32_e32 v39, v40
	v_lshlrev_b32_e32 v46, 26, v38
	v_cmp_ne_u32_e32 vcc_lo, 0, v44
	v_ashrrev_i32_e32 v48, 31, v48
	v_lshlrev_b32_e32 v47, 25, v38
	v_ashrrev_i32_e32 v39, 31, v39
	v_lshlrev_b32_e32 v44, 24, v38
	v_xor_b32_e32 v3, vcc_lo, v3
	v_cmp_gt_i32_e32 vcc_lo, 0, v40
	v_not_b32_e32 v40, v41
	v_xor_b32_e32 v48, s0, v48
	v_cmp_gt_i32_e64 s0, 0, v41
	v_and_b32_e32 v3, exec_lo, v3
	v_not_b32_e32 v41, v45
	v_ashrrev_i32_e32 v40, 31, v40
	v_xor_b32_e32 v39, vcc_lo, v39
	v_cmp_gt_i32_e32 vcc_lo, 0, v45
	v_and_b32_e32 v3, v3, v48
	v_not_b32_e32 v45, v46
	v_ashrrev_i32_e32 v41, 31, v41
	v_xor_b32_e32 v40, s0, v40
	v_cmp_gt_i32_e64 s0, 0, v46
	v_and_b32_e32 v3, v3, v39
	v_not_b32_e32 v39, v47
	v_ashrrev_i32_e32 v45, 31, v45
	v_xor_b32_e32 v41, vcc_lo, v41
	v_cmp_gt_i32_e32 vcc_lo, 0, v47
	v_and_b32_e32 v3, v3, v40
	v_not_b32_e32 v40, v44
	v_ashrrev_i32_e32 v39, 31, v39
	v_xor_b32_e32 v45, s0, v45
	v_cmp_gt_i32_e64 s0, 0, v44
	v_and_b32_e32 v3, v3, v41
	v_ashrrev_i32_e32 v40, 31, v40
	v_xor_b32_e32 v39, vcc_lo, v39
	v_mad_u32_u24 v0, v0, s4, v2
	v_mul_u32_u24_e32 v41, 9, v1
	v_and_b32_e32 v3, v3, v45
	v_xor_b32_e32 v40, s0, v40
	s_delay_alu instid0(VALU_DEP_3) | instskip(NEXT) | instid1(VALU_DEP_3)
	v_lshlrev_b32_e32 v44, 2, v41
	v_and_b32_e32 v39, v3, v39
	s_waitcnt vmcnt(15)
	v_mad_u64_u32 v[2:3], null, v0, v37, v[1:2]
	ds_store_2addr_b32 v44, v36, v36 offset0:8 offset1:9
	ds_store_2addr_b32 v44, v36, v36 offset0:10 offset1:11
	;; [unrolled: 1-line block ×4, first 2 shown]
	v_and_b32_e32 v3, v39, v40
	ds_store_b32 v44, v36 offset:64
	v_lshl_add_u32 v36, v38, 3, v38
	s_waitcnt vmcnt(0) lgkmcnt(0)
	s_waitcnt_vscnt null, 0x0
	v_lshrrev_b32_e32 v2, 5, v2
	v_mbcnt_lo_u32_b32 v0, v3, 0
	v_cmp_ne_u32_e64 s0, 0, v3
	s_barrier
	buffer_gl0_inv
	v_add_lshl_u32 v45, v2, v36, 2
	v_cmp_eq_u32_e32 vcc_lo, 0, v0
	; wave barrier
	s_and_b32 s4, s0, vcc_lo
	s_delay_alu instid0(SALU_CYCLE_1)
	s_and_saveexec_b32 s0, s4
	s_cbranch_execz .LBB25_167
; %bb.166:
	v_bcnt_u32_b32 v3, v3, 0
	ds_store_b32 v45, v3 offset:32
.LBB25_167:
	s_or_b32 exec_lo, exec_lo, s0
	v_xor_b32_e32 v35, 0x80000000, v35
	; wave barrier
	s_delay_alu instid0(VALU_DEP_1) | instskip(NEXT) | instid1(VALU_DEP_1)
	v_lshrrev_b64 v[36:37], s48, v[34:35]
	v_and_b32_e32 v3, s1, v36
	s_delay_alu instid0(VALU_DEP_1)
	v_and_b32_e32 v36, 1, v3
	v_lshlrev_b32_e32 v37, 30, v3
	v_lshlrev_b32_e32 v38, 29, v3
	;; [unrolled: 1-line block ×4, first 2 shown]
	v_add_co_u32 v36, s0, v36, -1
	s_delay_alu instid0(VALU_DEP_1)
	v_cndmask_b32_e64 v40, 0, 1, s0
	v_not_b32_e32 v48, v37
	v_cmp_gt_i32_e64 s0, 0, v37
	v_not_b32_e32 v37, v38
	v_lshlrev_b32_e32 v46, 26, v3
	v_cmp_ne_u32_e32 vcc_lo, 0, v40
	v_ashrrev_i32_e32 v48, 31, v48
	v_lshlrev_b32_e32 v47, 25, v3
	v_ashrrev_i32_e32 v37, 31, v37
	v_lshlrev_b32_e32 v40, 24, v3
	v_xor_b32_e32 v36, vcc_lo, v36
	v_cmp_gt_i32_e32 vcc_lo, 0, v38
	v_not_b32_e32 v38, v39
	v_xor_b32_e32 v48, s0, v48
	v_cmp_gt_i32_e64 s0, 0, v39
	v_and_b32_e32 v36, exec_lo, v36
	v_not_b32_e32 v39, v41
	v_ashrrev_i32_e32 v38, 31, v38
	v_xor_b32_e32 v37, vcc_lo, v37
	v_cmp_gt_i32_e32 vcc_lo, 0, v41
	v_and_b32_e32 v36, v36, v48
	v_not_b32_e32 v41, v46
	v_ashrrev_i32_e32 v39, 31, v39
	v_xor_b32_e32 v38, s0, v38
	v_cmp_gt_i32_e64 s0, 0, v46
	v_and_b32_e32 v36, v36, v37
	v_not_b32_e32 v37, v47
	v_ashrrev_i32_e32 v41, 31, v41
	v_xor_b32_e32 v39, vcc_lo, v39
	v_cmp_gt_i32_e32 vcc_lo, 0, v47
	v_and_b32_e32 v36, v36, v38
	v_not_b32_e32 v38, v40
	v_ashrrev_i32_e32 v37, 31, v37
	v_xor_b32_e32 v41, s0, v41
	v_lshl_add_u32 v3, v3, 3, v3
	v_and_b32_e32 v36, v36, v39
	v_cmp_gt_i32_e64 s0, 0, v40
	v_ashrrev_i32_e32 v38, 31, v38
	v_xor_b32_e32 v37, vcc_lo, v37
	v_add_lshl_u32 v48, v2, v3, 2
	v_and_b32_e32 v36, v36, v41
	s_delay_alu instid0(VALU_DEP_4) | instskip(SKIP_2) | instid1(VALU_DEP_1)
	v_xor_b32_e32 v3, s0, v38
	ds_load_b32 v46, v48 offset:32
	v_and_b32_e32 v36, v36, v37
	; wave barrier
	v_and_b32_e32 v3, v36, v3
	s_delay_alu instid0(VALU_DEP_1) | instskip(SKIP_1) | instid1(VALU_DEP_2)
	v_mbcnt_lo_u32_b32 v47, v3, 0
	v_cmp_ne_u32_e64 s0, 0, v3
	v_cmp_eq_u32_e32 vcc_lo, 0, v47
	s_delay_alu instid0(VALU_DEP_2) | instskip(NEXT) | instid1(SALU_CYCLE_1)
	s_and_b32 s4, s0, vcc_lo
	s_and_saveexec_b32 s0, s4
	s_cbranch_execz .LBB25_169
; %bb.168:
	s_waitcnt lgkmcnt(0)
	v_bcnt_u32_b32 v3, v3, v46
	ds_store_b32 v48, v3 offset:32
.LBB25_169:
	s_or_b32 exec_lo, exec_lo, s0
	v_xor_b32_e32 v33, 0x80000000, v33
	; wave barrier
	s_delay_alu instid0(VALU_DEP_1) | instskip(NEXT) | instid1(VALU_DEP_1)
	v_lshrrev_b64 v[36:37], s48, v[32:33]
	v_and_b32_e32 v3, s1, v36
	s_delay_alu instid0(VALU_DEP_1)
	v_and_b32_e32 v36, 1, v3
	v_lshlrev_b32_e32 v37, 30, v3
	v_lshlrev_b32_e32 v38, 29, v3
	;; [unrolled: 1-line block ×4, first 2 shown]
	v_add_co_u32 v36, s0, v36, -1
	s_delay_alu instid0(VALU_DEP_1)
	v_cndmask_b32_e64 v40, 0, 1, s0
	v_not_b32_e32 v51, v37
	v_cmp_gt_i32_e64 s0, 0, v37
	v_not_b32_e32 v37, v38
	v_lshlrev_b32_e32 v49, 26, v3
	v_cmp_ne_u32_e32 vcc_lo, 0, v40
	v_ashrrev_i32_e32 v51, 31, v51
	v_lshlrev_b32_e32 v50, 25, v3
	v_ashrrev_i32_e32 v37, 31, v37
	v_lshlrev_b32_e32 v40, 24, v3
	v_xor_b32_e32 v36, vcc_lo, v36
	v_cmp_gt_i32_e32 vcc_lo, 0, v38
	v_not_b32_e32 v38, v39
	v_xor_b32_e32 v51, s0, v51
	v_cmp_gt_i32_e64 s0, 0, v39
	v_and_b32_e32 v36, exec_lo, v36
	v_not_b32_e32 v39, v41
	v_ashrrev_i32_e32 v38, 31, v38
	v_xor_b32_e32 v37, vcc_lo, v37
	v_cmp_gt_i32_e32 vcc_lo, 0, v41
	v_and_b32_e32 v36, v36, v51
	v_not_b32_e32 v41, v49
	v_ashrrev_i32_e32 v39, 31, v39
	v_xor_b32_e32 v38, s0, v38
	v_cmp_gt_i32_e64 s0, 0, v49
	v_and_b32_e32 v36, v36, v37
	v_not_b32_e32 v37, v50
	v_ashrrev_i32_e32 v41, 31, v41
	v_xor_b32_e32 v39, vcc_lo, v39
	v_cmp_gt_i32_e32 vcc_lo, 0, v50
	v_and_b32_e32 v36, v36, v38
	v_not_b32_e32 v38, v40
	v_ashrrev_i32_e32 v37, 31, v37
	v_xor_b32_e32 v41, s0, v41
	v_lshl_add_u32 v3, v3, 3, v3
	v_and_b32_e32 v36, v36, v39
	v_cmp_gt_i32_e64 s0, 0, v40
	v_ashrrev_i32_e32 v38, 31, v38
	v_xor_b32_e32 v37, vcc_lo, v37
	v_add_lshl_u32 v51, v2, v3, 2
	v_and_b32_e32 v36, v36, v41
	s_delay_alu instid0(VALU_DEP_4) | instskip(SKIP_2) | instid1(VALU_DEP_1)
	v_xor_b32_e32 v3, s0, v38
	ds_load_b32 v49, v51 offset:32
	v_and_b32_e32 v36, v36, v37
	; wave barrier
	v_and_b32_e32 v3, v36, v3
	s_delay_alu instid0(VALU_DEP_1) | instskip(SKIP_1) | instid1(VALU_DEP_2)
	v_mbcnt_lo_u32_b32 v50, v3, 0
	v_cmp_ne_u32_e64 s0, 0, v3
	v_cmp_eq_u32_e32 vcc_lo, 0, v50
	s_delay_alu instid0(VALU_DEP_2) | instskip(NEXT) | instid1(SALU_CYCLE_1)
	s_and_b32 s4, s0, vcc_lo
	s_and_saveexec_b32 s0, s4
	s_cbranch_execz .LBB25_171
; %bb.170:
	s_waitcnt lgkmcnt(0)
	v_bcnt_u32_b32 v3, v3, v49
	ds_store_b32 v51, v3 offset:32
.LBB25_171:
	s_or_b32 exec_lo, exec_lo, s0
	v_xor_b32_e32 v31, 0x80000000, v31
	; wave barrier
	s_delay_alu instid0(VALU_DEP_1) | instskip(NEXT) | instid1(VALU_DEP_1)
	v_lshrrev_b64 v[36:37], s48, v[30:31]
	v_and_b32_e32 v3, s1, v36
	s_delay_alu instid0(VALU_DEP_1)
	v_and_b32_e32 v36, 1, v3
	v_lshlrev_b32_e32 v37, 30, v3
	v_lshlrev_b32_e32 v38, 29, v3
	v_lshlrev_b32_e32 v39, 28, v3
	v_lshlrev_b32_e32 v41, 27, v3
	v_add_co_u32 v36, s0, v36, -1
	s_delay_alu instid0(VALU_DEP_1)
	v_cndmask_b32_e64 v40, 0, 1, s0
	v_not_b32_e32 v54, v37
	v_cmp_gt_i32_e64 s0, 0, v37
	v_not_b32_e32 v37, v38
	v_lshlrev_b32_e32 v52, 26, v3
	v_cmp_ne_u32_e32 vcc_lo, 0, v40
	v_ashrrev_i32_e32 v54, 31, v54
	v_lshlrev_b32_e32 v53, 25, v3
	v_ashrrev_i32_e32 v37, 31, v37
	v_lshlrev_b32_e32 v40, 24, v3
	v_xor_b32_e32 v36, vcc_lo, v36
	v_cmp_gt_i32_e32 vcc_lo, 0, v38
	v_not_b32_e32 v38, v39
	v_xor_b32_e32 v54, s0, v54
	v_cmp_gt_i32_e64 s0, 0, v39
	v_and_b32_e32 v36, exec_lo, v36
	v_not_b32_e32 v39, v41
	v_ashrrev_i32_e32 v38, 31, v38
	v_xor_b32_e32 v37, vcc_lo, v37
	v_cmp_gt_i32_e32 vcc_lo, 0, v41
	v_and_b32_e32 v36, v36, v54
	v_not_b32_e32 v41, v52
	v_ashrrev_i32_e32 v39, 31, v39
	v_xor_b32_e32 v38, s0, v38
	v_cmp_gt_i32_e64 s0, 0, v52
	v_and_b32_e32 v36, v36, v37
	v_not_b32_e32 v37, v53
	v_ashrrev_i32_e32 v41, 31, v41
	v_xor_b32_e32 v39, vcc_lo, v39
	v_cmp_gt_i32_e32 vcc_lo, 0, v53
	v_and_b32_e32 v36, v36, v38
	v_not_b32_e32 v38, v40
	v_ashrrev_i32_e32 v37, 31, v37
	v_xor_b32_e32 v41, s0, v41
	v_lshl_add_u32 v3, v3, 3, v3
	v_and_b32_e32 v36, v36, v39
	v_cmp_gt_i32_e64 s0, 0, v40
	v_ashrrev_i32_e32 v38, 31, v38
	v_xor_b32_e32 v37, vcc_lo, v37
	v_add_lshl_u32 v54, v2, v3, 2
	v_and_b32_e32 v36, v36, v41
	s_delay_alu instid0(VALU_DEP_4) | instskip(SKIP_2) | instid1(VALU_DEP_1)
	v_xor_b32_e32 v3, s0, v38
	ds_load_b32 v52, v54 offset:32
	v_and_b32_e32 v36, v36, v37
	; wave barrier
	v_and_b32_e32 v3, v36, v3
	s_delay_alu instid0(VALU_DEP_1) | instskip(SKIP_1) | instid1(VALU_DEP_2)
	v_mbcnt_lo_u32_b32 v53, v3, 0
	v_cmp_ne_u32_e64 s0, 0, v3
	v_cmp_eq_u32_e32 vcc_lo, 0, v53
	s_delay_alu instid0(VALU_DEP_2) | instskip(NEXT) | instid1(SALU_CYCLE_1)
	s_and_b32 s4, s0, vcc_lo
	s_and_saveexec_b32 s0, s4
	s_cbranch_execz .LBB25_173
; %bb.172:
	s_waitcnt lgkmcnt(0)
	v_bcnt_u32_b32 v3, v3, v52
	ds_store_b32 v54, v3 offset:32
.LBB25_173:
	s_or_b32 exec_lo, exec_lo, s0
	v_xor_b32_e32 v29, 0x80000000, v29
	; wave barrier
	s_delay_alu instid0(VALU_DEP_1) | instskip(NEXT) | instid1(VALU_DEP_1)
	v_lshrrev_b64 v[36:37], s48, v[28:29]
	v_and_b32_e32 v3, s1, v36
	s_delay_alu instid0(VALU_DEP_1)
	v_and_b32_e32 v36, 1, v3
	v_lshlrev_b32_e32 v37, 30, v3
	v_lshlrev_b32_e32 v38, 29, v3
	v_lshlrev_b32_e32 v39, 28, v3
	v_lshlrev_b32_e32 v41, 27, v3
	v_add_co_u32 v36, s0, v36, -1
	s_delay_alu instid0(VALU_DEP_1)
	v_cndmask_b32_e64 v40, 0, 1, s0
	v_not_b32_e32 v57, v37
	v_cmp_gt_i32_e64 s0, 0, v37
	v_not_b32_e32 v37, v38
	v_lshlrev_b32_e32 v55, 26, v3
	v_cmp_ne_u32_e32 vcc_lo, 0, v40
	v_ashrrev_i32_e32 v57, 31, v57
	v_lshlrev_b32_e32 v56, 25, v3
	v_ashrrev_i32_e32 v37, 31, v37
	v_lshlrev_b32_e32 v40, 24, v3
	v_xor_b32_e32 v36, vcc_lo, v36
	v_cmp_gt_i32_e32 vcc_lo, 0, v38
	v_not_b32_e32 v38, v39
	v_xor_b32_e32 v57, s0, v57
	v_cmp_gt_i32_e64 s0, 0, v39
	v_and_b32_e32 v36, exec_lo, v36
	v_not_b32_e32 v39, v41
	v_ashrrev_i32_e32 v38, 31, v38
	v_xor_b32_e32 v37, vcc_lo, v37
	v_cmp_gt_i32_e32 vcc_lo, 0, v41
	v_and_b32_e32 v36, v36, v57
	v_not_b32_e32 v41, v55
	v_ashrrev_i32_e32 v39, 31, v39
	v_xor_b32_e32 v38, s0, v38
	v_cmp_gt_i32_e64 s0, 0, v55
	v_and_b32_e32 v36, v36, v37
	v_not_b32_e32 v37, v56
	v_ashrrev_i32_e32 v41, 31, v41
	v_xor_b32_e32 v39, vcc_lo, v39
	v_cmp_gt_i32_e32 vcc_lo, 0, v56
	v_and_b32_e32 v36, v36, v38
	v_not_b32_e32 v38, v40
	v_ashrrev_i32_e32 v37, 31, v37
	v_xor_b32_e32 v41, s0, v41
	v_lshl_add_u32 v3, v3, 3, v3
	v_and_b32_e32 v36, v36, v39
	v_cmp_gt_i32_e64 s0, 0, v40
	v_ashrrev_i32_e32 v38, 31, v38
	v_xor_b32_e32 v37, vcc_lo, v37
	v_add_lshl_u32 v57, v2, v3, 2
	v_and_b32_e32 v36, v36, v41
	s_delay_alu instid0(VALU_DEP_4) | instskip(SKIP_2) | instid1(VALU_DEP_1)
	v_xor_b32_e32 v3, s0, v38
	ds_load_b32 v55, v57 offset:32
	v_and_b32_e32 v36, v36, v37
	; wave barrier
	v_and_b32_e32 v3, v36, v3
	s_delay_alu instid0(VALU_DEP_1) | instskip(SKIP_1) | instid1(VALU_DEP_2)
	v_mbcnt_lo_u32_b32 v56, v3, 0
	v_cmp_ne_u32_e64 s0, 0, v3
	v_cmp_eq_u32_e32 vcc_lo, 0, v56
	s_delay_alu instid0(VALU_DEP_2) | instskip(NEXT) | instid1(SALU_CYCLE_1)
	s_and_b32 s4, s0, vcc_lo
	s_and_saveexec_b32 s0, s4
	s_cbranch_execz .LBB25_175
; %bb.174:
	s_waitcnt lgkmcnt(0)
	v_bcnt_u32_b32 v3, v3, v55
	ds_store_b32 v57, v3 offset:32
.LBB25_175:
	s_or_b32 exec_lo, exec_lo, s0
	v_xor_b32_e32 v27, 0x80000000, v27
	; wave barrier
	s_delay_alu instid0(VALU_DEP_1) | instskip(NEXT) | instid1(VALU_DEP_1)
	v_lshrrev_b64 v[36:37], s48, v[26:27]
	v_and_b32_e32 v3, s1, v36
	s_delay_alu instid0(VALU_DEP_1)
	v_and_b32_e32 v36, 1, v3
	v_lshlrev_b32_e32 v37, 30, v3
	v_lshlrev_b32_e32 v38, 29, v3
	;; [unrolled: 1-line block ×4, first 2 shown]
	v_add_co_u32 v36, s0, v36, -1
	s_delay_alu instid0(VALU_DEP_1)
	v_cndmask_b32_e64 v40, 0, 1, s0
	v_not_b32_e32 v60, v37
	v_cmp_gt_i32_e64 s0, 0, v37
	v_not_b32_e32 v37, v38
	v_lshlrev_b32_e32 v58, 26, v3
	v_cmp_ne_u32_e32 vcc_lo, 0, v40
	v_ashrrev_i32_e32 v60, 31, v60
	v_lshlrev_b32_e32 v59, 25, v3
	v_ashrrev_i32_e32 v37, 31, v37
	v_lshlrev_b32_e32 v40, 24, v3
	v_xor_b32_e32 v36, vcc_lo, v36
	v_cmp_gt_i32_e32 vcc_lo, 0, v38
	v_not_b32_e32 v38, v39
	v_xor_b32_e32 v60, s0, v60
	v_cmp_gt_i32_e64 s0, 0, v39
	v_and_b32_e32 v36, exec_lo, v36
	v_not_b32_e32 v39, v41
	v_ashrrev_i32_e32 v38, 31, v38
	v_xor_b32_e32 v37, vcc_lo, v37
	v_cmp_gt_i32_e32 vcc_lo, 0, v41
	v_and_b32_e32 v36, v36, v60
	v_not_b32_e32 v41, v58
	v_ashrrev_i32_e32 v39, 31, v39
	v_xor_b32_e32 v38, s0, v38
	v_cmp_gt_i32_e64 s0, 0, v58
	v_and_b32_e32 v36, v36, v37
	v_not_b32_e32 v37, v59
	v_ashrrev_i32_e32 v41, 31, v41
	v_xor_b32_e32 v39, vcc_lo, v39
	v_cmp_gt_i32_e32 vcc_lo, 0, v59
	v_and_b32_e32 v36, v36, v38
	v_not_b32_e32 v38, v40
	v_ashrrev_i32_e32 v37, 31, v37
	v_xor_b32_e32 v41, s0, v41
	v_lshl_add_u32 v3, v3, 3, v3
	v_and_b32_e32 v36, v36, v39
	v_cmp_gt_i32_e64 s0, 0, v40
	v_ashrrev_i32_e32 v38, 31, v38
	v_xor_b32_e32 v37, vcc_lo, v37
	v_add_lshl_u32 v60, v2, v3, 2
	v_and_b32_e32 v36, v36, v41
	s_delay_alu instid0(VALU_DEP_4) | instskip(SKIP_2) | instid1(VALU_DEP_1)
	v_xor_b32_e32 v3, s0, v38
	ds_load_b32 v58, v60 offset:32
	v_and_b32_e32 v36, v36, v37
	; wave barrier
	v_and_b32_e32 v3, v36, v3
	s_delay_alu instid0(VALU_DEP_1) | instskip(SKIP_1) | instid1(VALU_DEP_2)
	v_mbcnt_lo_u32_b32 v59, v3, 0
	v_cmp_ne_u32_e64 s0, 0, v3
	v_cmp_eq_u32_e32 vcc_lo, 0, v59
	s_delay_alu instid0(VALU_DEP_2) | instskip(NEXT) | instid1(SALU_CYCLE_1)
	s_and_b32 s4, s0, vcc_lo
	s_and_saveexec_b32 s0, s4
	s_cbranch_execz .LBB25_177
; %bb.176:
	s_waitcnt lgkmcnt(0)
	v_bcnt_u32_b32 v3, v3, v58
	ds_store_b32 v60, v3 offset:32
.LBB25_177:
	s_or_b32 exec_lo, exec_lo, s0
	v_xor_b32_e32 v25, 0x80000000, v25
	; wave barrier
	s_delay_alu instid0(VALU_DEP_1) | instskip(NEXT) | instid1(VALU_DEP_1)
	v_lshrrev_b64 v[36:37], s48, v[24:25]
	v_and_b32_e32 v3, s1, v36
	s_delay_alu instid0(VALU_DEP_1)
	v_and_b32_e32 v36, 1, v3
	v_lshlrev_b32_e32 v37, 30, v3
	v_lshlrev_b32_e32 v38, 29, v3
	;; [unrolled: 1-line block ×4, first 2 shown]
	v_add_co_u32 v36, s0, v36, -1
	s_delay_alu instid0(VALU_DEP_1)
	v_cndmask_b32_e64 v40, 0, 1, s0
	v_not_b32_e32 v63, v37
	v_cmp_gt_i32_e64 s0, 0, v37
	v_not_b32_e32 v37, v38
	v_lshlrev_b32_e32 v61, 26, v3
	v_cmp_ne_u32_e32 vcc_lo, 0, v40
	v_ashrrev_i32_e32 v63, 31, v63
	v_lshlrev_b32_e32 v62, 25, v3
	v_ashrrev_i32_e32 v37, 31, v37
	v_lshlrev_b32_e32 v40, 24, v3
	v_xor_b32_e32 v36, vcc_lo, v36
	v_cmp_gt_i32_e32 vcc_lo, 0, v38
	v_not_b32_e32 v38, v39
	v_xor_b32_e32 v63, s0, v63
	v_cmp_gt_i32_e64 s0, 0, v39
	v_and_b32_e32 v36, exec_lo, v36
	v_not_b32_e32 v39, v41
	v_ashrrev_i32_e32 v38, 31, v38
	v_xor_b32_e32 v37, vcc_lo, v37
	v_cmp_gt_i32_e32 vcc_lo, 0, v41
	v_and_b32_e32 v36, v36, v63
	v_not_b32_e32 v41, v61
	v_ashrrev_i32_e32 v39, 31, v39
	v_xor_b32_e32 v38, s0, v38
	v_cmp_gt_i32_e64 s0, 0, v61
	v_and_b32_e32 v36, v36, v37
	v_not_b32_e32 v37, v62
	v_ashrrev_i32_e32 v41, 31, v41
	v_xor_b32_e32 v39, vcc_lo, v39
	v_cmp_gt_i32_e32 vcc_lo, 0, v62
	v_and_b32_e32 v36, v36, v38
	v_not_b32_e32 v38, v40
	v_ashrrev_i32_e32 v37, 31, v37
	v_xor_b32_e32 v41, s0, v41
	v_lshl_add_u32 v3, v3, 3, v3
	v_and_b32_e32 v36, v36, v39
	v_cmp_gt_i32_e64 s0, 0, v40
	v_ashrrev_i32_e32 v38, 31, v38
	v_xor_b32_e32 v37, vcc_lo, v37
	v_add_lshl_u32 v63, v2, v3, 2
	v_and_b32_e32 v36, v36, v41
	s_delay_alu instid0(VALU_DEP_4) | instskip(SKIP_2) | instid1(VALU_DEP_1)
	v_xor_b32_e32 v3, s0, v38
	ds_load_b32 v61, v63 offset:32
	v_and_b32_e32 v36, v36, v37
	; wave barrier
	v_and_b32_e32 v3, v36, v3
	s_delay_alu instid0(VALU_DEP_1) | instskip(SKIP_1) | instid1(VALU_DEP_2)
	v_mbcnt_lo_u32_b32 v62, v3, 0
	v_cmp_ne_u32_e64 s0, 0, v3
	v_cmp_eq_u32_e32 vcc_lo, 0, v62
	s_delay_alu instid0(VALU_DEP_2) | instskip(NEXT) | instid1(SALU_CYCLE_1)
	s_and_b32 s4, s0, vcc_lo
	s_and_saveexec_b32 s0, s4
	s_cbranch_execz .LBB25_179
; %bb.178:
	s_waitcnt lgkmcnt(0)
	v_bcnt_u32_b32 v3, v3, v61
	ds_store_b32 v63, v3 offset:32
.LBB25_179:
	s_or_b32 exec_lo, exec_lo, s0
	v_xor_b32_e32 v23, 0x80000000, v23
	; wave barrier
	s_delay_alu instid0(VALU_DEP_1) | instskip(NEXT) | instid1(VALU_DEP_1)
	v_lshrrev_b64 v[36:37], s48, v[22:23]
	v_and_b32_e32 v3, s1, v36
	s_delay_alu instid0(VALU_DEP_1)
	v_and_b32_e32 v36, 1, v3
	v_lshlrev_b32_e32 v37, 30, v3
	v_lshlrev_b32_e32 v38, 29, v3
	;; [unrolled: 1-line block ×4, first 2 shown]
	v_add_co_u32 v36, s0, v36, -1
	s_delay_alu instid0(VALU_DEP_1)
	v_cndmask_b32_e64 v40, 0, 1, s0
	v_not_b32_e32 v66, v37
	v_cmp_gt_i32_e64 s0, 0, v37
	v_not_b32_e32 v37, v38
	v_lshlrev_b32_e32 v64, 26, v3
	v_cmp_ne_u32_e32 vcc_lo, 0, v40
	v_ashrrev_i32_e32 v66, 31, v66
	v_lshlrev_b32_e32 v65, 25, v3
	v_ashrrev_i32_e32 v37, 31, v37
	v_lshlrev_b32_e32 v40, 24, v3
	v_xor_b32_e32 v36, vcc_lo, v36
	v_cmp_gt_i32_e32 vcc_lo, 0, v38
	v_not_b32_e32 v38, v39
	v_xor_b32_e32 v66, s0, v66
	v_cmp_gt_i32_e64 s0, 0, v39
	v_and_b32_e32 v36, exec_lo, v36
	v_not_b32_e32 v39, v41
	v_ashrrev_i32_e32 v38, 31, v38
	v_xor_b32_e32 v37, vcc_lo, v37
	v_cmp_gt_i32_e32 vcc_lo, 0, v41
	v_and_b32_e32 v36, v36, v66
	v_not_b32_e32 v41, v64
	v_ashrrev_i32_e32 v39, 31, v39
	v_xor_b32_e32 v38, s0, v38
	v_cmp_gt_i32_e64 s0, 0, v64
	v_and_b32_e32 v36, v36, v37
	v_not_b32_e32 v37, v65
	v_ashrrev_i32_e32 v41, 31, v41
	v_xor_b32_e32 v39, vcc_lo, v39
	v_cmp_gt_i32_e32 vcc_lo, 0, v65
	v_and_b32_e32 v36, v36, v38
	v_not_b32_e32 v38, v40
	v_ashrrev_i32_e32 v37, 31, v37
	v_xor_b32_e32 v41, s0, v41
	v_lshl_add_u32 v3, v3, 3, v3
	v_and_b32_e32 v36, v36, v39
	v_cmp_gt_i32_e64 s0, 0, v40
	v_ashrrev_i32_e32 v38, 31, v38
	v_xor_b32_e32 v37, vcc_lo, v37
	v_add_lshl_u32 v66, v2, v3, 2
	v_and_b32_e32 v36, v36, v41
	s_delay_alu instid0(VALU_DEP_4) | instskip(SKIP_2) | instid1(VALU_DEP_1)
	v_xor_b32_e32 v3, s0, v38
	ds_load_b32 v64, v66 offset:32
	v_and_b32_e32 v36, v36, v37
	; wave barrier
	v_and_b32_e32 v3, v36, v3
	s_delay_alu instid0(VALU_DEP_1) | instskip(SKIP_1) | instid1(VALU_DEP_2)
	v_mbcnt_lo_u32_b32 v65, v3, 0
	v_cmp_ne_u32_e64 s0, 0, v3
	v_cmp_eq_u32_e32 vcc_lo, 0, v65
	s_delay_alu instid0(VALU_DEP_2) | instskip(NEXT) | instid1(SALU_CYCLE_1)
	s_and_b32 s4, s0, vcc_lo
	s_and_saveexec_b32 s0, s4
	s_cbranch_execz .LBB25_181
; %bb.180:
	s_waitcnt lgkmcnt(0)
	v_bcnt_u32_b32 v3, v3, v64
	ds_store_b32 v66, v3 offset:32
.LBB25_181:
	s_or_b32 exec_lo, exec_lo, s0
	v_xor_b32_e32 v21, 0x80000000, v21
	; wave barrier
	s_delay_alu instid0(VALU_DEP_1) | instskip(NEXT) | instid1(VALU_DEP_1)
	v_lshrrev_b64 v[36:37], s48, v[20:21]
	v_and_b32_e32 v3, s1, v36
	s_delay_alu instid0(VALU_DEP_1)
	v_and_b32_e32 v36, 1, v3
	v_lshlrev_b32_e32 v37, 30, v3
	v_lshlrev_b32_e32 v38, 29, v3
	;; [unrolled: 1-line block ×4, first 2 shown]
	v_add_co_u32 v36, s0, v36, -1
	s_delay_alu instid0(VALU_DEP_1)
	v_cndmask_b32_e64 v40, 0, 1, s0
	v_not_b32_e32 v69, v37
	v_cmp_gt_i32_e64 s0, 0, v37
	v_not_b32_e32 v37, v38
	v_lshlrev_b32_e32 v67, 26, v3
	v_cmp_ne_u32_e32 vcc_lo, 0, v40
	v_ashrrev_i32_e32 v69, 31, v69
	v_lshlrev_b32_e32 v68, 25, v3
	v_ashrrev_i32_e32 v37, 31, v37
	v_lshlrev_b32_e32 v40, 24, v3
	v_xor_b32_e32 v36, vcc_lo, v36
	v_cmp_gt_i32_e32 vcc_lo, 0, v38
	v_not_b32_e32 v38, v39
	v_xor_b32_e32 v69, s0, v69
	v_cmp_gt_i32_e64 s0, 0, v39
	v_and_b32_e32 v36, exec_lo, v36
	v_not_b32_e32 v39, v41
	v_ashrrev_i32_e32 v38, 31, v38
	v_xor_b32_e32 v37, vcc_lo, v37
	v_cmp_gt_i32_e32 vcc_lo, 0, v41
	v_and_b32_e32 v36, v36, v69
	v_not_b32_e32 v41, v67
	v_ashrrev_i32_e32 v39, 31, v39
	v_xor_b32_e32 v38, s0, v38
	v_cmp_gt_i32_e64 s0, 0, v67
	v_and_b32_e32 v36, v36, v37
	v_not_b32_e32 v37, v68
	v_ashrrev_i32_e32 v41, 31, v41
	v_xor_b32_e32 v39, vcc_lo, v39
	v_cmp_gt_i32_e32 vcc_lo, 0, v68
	v_and_b32_e32 v36, v36, v38
	v_not_b32_e32 v38, v40
	v_ashrrev_i32_e32 v37, 31, v37
	v_xor_b32_e32 v41, s0, v41
	v_lshl_add_u32 v3, v3, 3, v3
	v_and_b32_e32 v36, v36, v39
	v_cmp_gt_i32_e64 s0, 0, v40
	v_ashrrev_i32_e32 v38, 31, v38
	v_xor_b32_e32 v37, vcc_lo, v37
	v_add_lshl_u32 v69, v2, v3, 2
	v_and_b32_e32 v36, v36, v41
	s_delay_alu instid0(VALU_DEP_4) | instskip(SKIP_2) | instid1(VALU_DEP_1)
	v_xor_b32_e32 v3, s0, v38
	ds_load_b32 v67, v69 offset:32
	v_and_b32_e32 v36, v36, v37
	; wave barrier
	v_and_b32_e32 v3, v36, v3
	s_delay_alu instid0(VALU_DEP_1) | instskip(SKIP_1) | instid1(VALU_DEP_2)
	v_mbcnt_lo_u32_b32 v68, v3, 0
	v_cmp_ne_u32_e64 s0, 0, v3
	v_cmp_eq_u32_e32 vcc_lo, 0, v68
	s_delay_alu instid0(VALU_DEP_2) | instskip(NEXT) | instid1(SALU_CYCLE_1)
	s_and_b32 s4, s0, vcc_lo
	s_and_saveexec_b32 s0, s4
	s_cbranch_execz .LBB25_183
; %bb.182:
	s_waitcnt lgkmcnt(0)
	v_bcnt_u32_b32 v3, v3, v67
	ds_store_b32 v69, v3 offset:32
.LBB25_183:
	s_or_b32 exec_lo, exec_lo, s0
	v_xor_b32_e32 v19, 0x80000000, v19
	; wave barrier
	s_delay_alu instid0(VALU_DEP_1) | instskip(NEXT) | instid1(VALU_DEP_1)
	v_lshrrev_b64 v[36:37], s48, v[18:19]
	v_and_b32_e32 v3, s1, v36
	s_delay_alu instid0(VALU_DEP_1)
	v_and_b32_e32 v36, 1, v3
	v_lshlrev_b32_e32 v37, 30, v3
	v_lshlrev_b32_e32 v38, 29, v3
	;; [unrolled: 1-line block ×4, first 2 shown]
	v_add_co_u32 v36, s0, v36, -1
	s_delay_alu instid0(VALU_DEP_1)
	v_cndmask_b32_e64 v40, 0, 1, s0
	v_not_b32_e32 v72, v37
	v_cmp_gt_i32_e64 s0, 0, v37
	v_not_b32_e32 v37, v38
	v_lshlrev_b32_e32 v70, 26, v3
	v_cmp_ne_u32_e32 vcc_lo, 0, v40
	v_ashrrev_i32_e32 v72, 31, v72
	v_lshlrev_b32_e32 v71, 25, v3
	v_ashrrev_i32_e32 v37, 31, v37
	v_lshlrev_b32_e32 v40, 24, v3
	v_xor_b32_e32 v36, vcc_lo, v36
	v_cmp_gt_i32_e32 vcc_lo, 0, v38
	v_not_b32_e32 v38, v39
	v_xor_b32_e32 v72, s0, v72
	v_cmp_gt_i32_e64 s0, 0, v39
	v_and_b32_e32 v36, exec_lo, v36
	v_not_b32_e32 v39, v41
	v_ashrrev_i32_e32 v38, 31, v38
	v_xor_b32_e32 v37, vcc_lo, v37
	v_cmp_gt_i32_e32 vcc_lo, 0, v41
	v_and_b32_e32 v36, v36, v72
	v_not_b32_e32 v41, v70
	v_ashrrev_i32_e32 v39, 31, v39
	v_xor_b32_e32 v38, s0, v38
	v_cmp_gt_i32_e64 s0, 0, v70
	v_and_b32_e32 v36, v36, v37
	v_not_b32_e32 v37, v71
	v_ashrrev_i32_e32 v41, 31, v41
	v_xor_b32_e32 v39, vcc_lo, v39
	v_cmp_gt_i32_e32 vcc_lo, 0, v71
	v_and_b32_e32 v36, v36, v38
	v_not_b32_e32 v38, v40
	v_ashrrev_i32_e32 v37, 31, v37
	v_xor_b32_e32 v41, s0, v41
	v_lshl_add_u32 v3, v3, 3, v3
	v_and_b32_e32 v36, v36, v39
	v_cmp_gt_i32_e64 s0, 0, v40
	v_ashrrev_i32_e32 v38, 31, v38
	v_xor_b32_e32 v37, vcc_lo, v37
	v_add_lshl_u32 v72, v2, v3, 2
	v_and_b32_e32 v36, v36, v41
	s_delay_alu instid0(VALU_DEP_4) | instskip(SKIP_2) | instid1(VALU_DEP_1)
	v_xor_b32_e32 v3, s0, v38
	ds_load_b32 v70, v72 offset:32
	v_and_b32_e32 v36, v36, v37
	; wave barrier
	v_and_b32_e32 v3, v36, v3
	s_delay_alu instid0(VALU_DEP_1) | instskip(SKIP_1) | instid1(VALU_DEP_2)
	v_mbcnt_lo_u32_b32 v71, v3, 0
	v_cmp_ne_u32_e64 s0, 0, v3
	v_cmp_eq_u32_e32 vcc_lo, 0, v71
	s_delay_alu instid0(VALU_DEP_2) | instskip(NEXT) | instid1(SALU_CYCLE_1)
	s_and_b32 s4, s0, vcc_lo
	s_and_saveexec_b32 s0, s4
	s_cbranch_execz .LBB25_185
; %bb.184:
	s_waitcnt lgkmcnt(0)
	v_bcnt_u32_b32 v3, v3, v70
	ds_store_b32 v72, v3 offset:32
.LBB25_185:
	s_or_b32 exec_lo, exec_lo, s0
	v_xor_b32_e32 v17, 0x80000000, v17
	; wave barrier
	s_delay_alu instid0(VALU_DEP_1) | instskip(NEXT) | instid1(VALU_DEP_1)
	v_lshrrev_b64 v[36:37], s48, v[16:17]
	v_and_b32_e32 v3, s1, v36
	s_delay_alu instid0(VALU_DEP_1)
	v_and_b32_e32 v36, 1, v3
	v_lshlrev_b32_e32 v37, 30, v3
	v_lshlrev_b32_e32 v38, 29, v3
	;; [unrolled: 1-line block ×4, first 2 shown]
	v_add_co_u32 v36, s0, v36, -1
	s_delay_alu instid0(VALU_DEP_1)
	v_cndmask_b32_e64 v40, 0, 1, s0
	v_not_b32_e32 v75, v37
	v_cmp_gt_i32_e64 s0, 0, v37
	v_not_b32_e32 v37, v38
	v_lshlrev_b32_e32 v73, 26, v3
	v_cmp_ne_u32_e32 vcc_lo, 0, v40
	v_ashrrev_i32_e32 v75, 31, v75
	v_lshlrev_b32_e32 v74, 25, v3
	v_ashrrev_i32_e32 v37, 31, v37
	v_lshlrev_b32_e32 v40, 24, v3
	v_xor_b32_e32 v36, vcc_lo, v36
	v_cmp_gt_i32_e32 vcc_lo, 0, v38
	v_not_b32_e32 v38, v39
	v_xor_b32_e32 v75, s0, v75
	v_cmp_gt_i32_e64 s0, 0, v39
	v_and_b32_e32 v36, exec_lo, v36
	v_not_b32_e32 v39, v41
	v_ashrrev_i32_e32 v38, 31, v38
	v_xor_b32_e32 v37, vcc_lo, v37
	v_cmp_gt_i32_e32 vcc_lo, 0, v41
	v_and_b32_e32 v36, v36, v75
	v_not_b32_e32 v41, v73
	v_ashrrev_i32_e32 v39, 31, v39
	v_xor_b32_e32 v38, s0, v38
	v_cmp_gt_i32_e64 s0, 0, v73
	v_and_b32_e32 v36, v36, v37
	v_not_b32_e32 v37, v74
	v_ashrrev_i32_e32 v41, 31, v41
	v_xor_b32_e32 v39, vcc_lo, v39
	v_cmp_gt_i32_e32 vcc_lo, 0, v74
	v_and_b32_e32 v36, v36, v38
	v_not_b32_e32 v38, v40
	v_ashrrev_i32_e32 v37, 31, v37
	v_xor_b32_e32 v41, s0, v41
	v_lshl_add_u32 v3, v3, 3, v3
	v_and_b32_e32 v36, v36, v39
	v_cmp_gt_i32_e64 s0, 0, v40
	v_ashrrev_i32_e32 v38, 31, v38
	v_xor_b32_e32 v37, vcc_lo, v37
	v_add_lshl_u32 v75, v2, v3, 2
	v_and_b32_e32 v36, v36, v41
	s_delay_alu instid0(VALU_DEP_4) | instskip(SKIP_2) | instid1(VALU_DEP_1)
	v_xor_b32_e32 v3, s0, v38
	ds_load_b32 v73, v75 offset:32
	v_and_b32_e32 v36, v36, v37
	; wave barrier
	v_and_b32_e32 v3, v36, v3
	s_delay_alu instid0(VALU_DEP_1) | instskip(SKIP_1) | instid1(VALU_DEP_2)
	v_mbcnt_lo_u32_b32 v74, v3, 0
	v_cmp_ne_u32_e64 s0, 0, v3
	v_cmp_eq_u32_e32 vcc_lo, 0, v74
	s_delay_alu instid0(VALU_DEP_2) | instskip(NEXT) | instid1(SALU_CYCLE_1)
	s_and_b32 s4, s0, vcc_lo
	s_and_saveexec_b32 s0, s4
	s_cbranch_execz .LBB25_187
; %bb.186:
	s_waitcnt lgkmcnt(0)
	v_bcnt_u32_b32 v3, v3, v73
	ds_store_b32 v75, v3 offset:32
.LBB25_187:
	s_or_b32 exec_lo, exec_lo, s0
	v_xor_b32_e32 v15, 0x80000000, v15
	; wave barrier
	s_delay_alu instid0(VALU_DEP_1) | instskip(NEXT) | instid1(VALU_DEP_1)
	v_lshrrev_b64 v[36:37], s48, v[14:15]
	v_and_b32_e32 v3, s1, v36
	s_delay_alu instid0(VALU_DEP_1)
	v_and_b32_e32 v36, 1, v3
	v_lshlrev_b32_e32 v37, 30, v3
	v_lshlrev_b32_e32 v38, 29, v3
	;; [unrolled: 1-line block ×4, first 2 shown]
	v_add_co_u32 v36, s0, v36, -1
	s_delay_alu instid0(VALU_DEP_1)
	v_cndmask_b32_e64 v40, 0, 1, s0
	v_not_b32_e32 v78, v37
	v_cmp_gt_i32_e64 s0, 0, v37
	v_not_b32_e32 v37, v38
	v_lshlrev_b32_e32 v76, 26, v3
	v_cmp_ne_u32_e32 vcc_lo, 0, v40
	v_ashrrev_i32_e32 v78, 31, v78
	v_lshlrev_b32_e32 v77, 25, v3
	v_ashrrev_i32_e32 v37, 31, v37
	v_lshlrev_b32_e32 v40, 24, v3
	v_xor_b32_e32 v36, vcc_lo, v36
	v_cmp_gt_i32_e32 vcc_lo, 0, v38
	v_not_b32_e32 v38, v39
	v_xor_b32_e32 v78, s0, v78
	v_cmp_gt_i32_e64 s0, 0, v39
	v_and_b32_e32 v36, exec_lo, v36
	v_not_b32_e32 v39, v41
	v_ashrrev_i32_e32 v38, 31, v38
	v_xor_b32_e32 v37, vcc_lo, v37
	v_cmp_gt_i32_e32 vcc_lo, 0, v41
	v_and_b32_e32 v36, v36, v78
	v_not_b32_e32 v41, v76
	v_ashrrev_i32_e32 v39, 31, v39
	v_xor_b32_e32 v38, s0, v38
	v_cmp_gt_i32_e64 s0, 0, v76
	v_and_b32_e32 v36, v36, v37
	v_not_b32_e32 v37, v77
	v_ashrrev_i32_e32 v41, 31, v41
	v_xor_b32_e32 v39, vcc_lo, v39
	v_cmp_gt_i32_e32 vcc_lo, 0, v77
	v_and_b32_e32 v36, v36, v38
	v_not_b32_e32 v38, v40
	v_ashrrev_i32_e32 v37, 31, v37
	v_xor_b32_e32 v41, s0, v41
	v_lshl_add_u32 v3, v3, 3, v3
	v_and_b32_e32 v36, v36, v39
	v_cmp_gt_i32_e64 s0, 0, v40
	v_ashrrev_i32_e32 v38, 31, v38
	v_xor_b32_e32 v37, vcc_lo, v37
	v_add_lshl_u32 v78, v2, v3, 2
	v_and_b32_e32 v36, v36, v41
	s_delay_alu instid0(VALU_DEP_4) | instskip(SKIP_2) | instid1(VALU_DEP_1)
	v_xor_b32_e32 v3, s0, v38
	ds_load_b32 v76, v78 offset:32
	v_and_b32_e32 v36, v36, v37
	; wave barrier
	v_and_b32_e32 v3, v36, v3
	s_delay_alu instid0(VALU_DEP_1) | instskip(SKIP_1) | instid1(VALU_DEP_2)
	v_mbcnt_lo_u32_b32 v77, v3, 0
	v_cmp_ne_u32_e64 s0, 0, v3
	v_cmp_eq_u32_e32 vcc_lo, 0, v77
	s_delay_alu instid0(VALU_DEP_2) | instskip(NEXT) | instid1(SALU_CYCLE_1)
	s_and_b32 s4, s0, vcc_lo
	s_and_saveexec_b32 s0, s4
	s_cbranch_execz .LBB25_189
; %bb.188:
	s_waitcnt lgkmcnt(0)
	v_bcnt_u32_b32 v3, v3, v76
	ds_store_b32 v78, v3 offset:32
.LBB25_189:
	s_or_b32 exec_lo, exec_lo, s0
	v_xor_b32_e32 v11, 0x80000000, v11
	; wave barrier
	s_delay_alu instid0(VALU_DEP_1) | instskip(NEXT) | instid1(VALU_DEP_1)
	v_lshrrev_b64 v[36:37], s48, v[10:11]
	v_and_b32_e32 v3, s1, v36
	s_delay_alu instid0(VALU_DEP_1)
	v_and_b32_e32 v36, 1, v3
	v_lshlrev_b32_e32 v37, 30, v3
	v_lshlrev_b32_e32 v38, 29, v3
	;; [unrolled: 1-line block ×4, first 2 shown]
	v_add_co_u32 v36, s0, v36, -1
	s_delay_alu instid0(VALU_DEP_1)
	v_cndmask_b32_e64 v40, 0, 1, s0
	v_not_b32_e32 v81, v37
	v_cmp_gt_i32_e64 s0, 0, v37
	v_not_b32_e32 v37, v38
	v_lshlrev_b32_e32 v79, 26, v3
	v_cmp_ne_u32_e32 vcc_lo, 0, v40
	v_ashrrev_i32_e32 v81, 31, v81
	v_lshlrev_b32_e32 v80, 25, v3
	v_ashrrev_i32_e32 v37, 31, v37
	v_lshlrev_b32_e32 v40, 24, v3
	v_xor_b32_e32 v36, vcc_lo, v36
	v_cmp_gt_i32_e32 vcc_lo, 0, v38
	v_not_b32_e32 v38, v39
	v_xor_b32_e32 v81, s0, v81
	v_cmp_gt_i32_e64 s0, 0, v39
	v_and_b32_e32 v36, exec_lo, v36
	v_not_b32_e32 v39, v41
	v_ashrrev_i32_e32 v38, 31, v38
	v_xor_b32_e32 v37, vcc_lo, v37
	v_cmp_gt_i32_e32 vcc_lo, 0, v41
	v_and_b32_e32 v36, v36, v81
	v_not_b32_e32 v41, v79
	v_ashrrev_i32_e32 v39, 31, v39
	v_xor_b32_e32 v38, s0, v38
	v_cmp_gt_i32_e64 s0, 0, v79
	v_and_b32_e32 v36, v36, v37
	v_not_b32_e32 v37, v80
	v_ashrrev_i32_e32 v41, 31, v41
	v_xor_b32_e32 v39, vcc_lo, v39
	v_cmp_gt_i32_e32 vcc_lo, 0, v80
	v_and_b32_e32 v36, v36, v38
	v_not_b32_e32 v38, v40
	v_ashrrev_i32_e32 v37, 31, v37
	v_xor_b32_e32 v41, s0, v41
	v_lshl_add_u32 v3, v3, 3, v3
	v_and_b32_e32 v36, v36, v39
	v_cmp_gt_i32_e64 s0, 0, v40
	v_ashrrev_i32_e32 v38, 31, v38
	v_xor_b32_e32 v37, vcc_lo, v37
	v_add_lshl_u32 v81, v2, v3, 2
	v_and_b32_e32 v36, v36, v41
	s_delay_alu instid0(VALU_DEP_4) | instskip(SKIP_2) | instid1(VALU_DEP_1)
	v_xor_b32_e32 v3, s0, v38
	ds_load_b32 v79, v81 offset:32
	v_and_b32_e32 v36, v36, v37
	; wave barrier
	v_and_b32_e32 v3, v36, v3
	s_delay_alu instid0(VALU_DEP_1) | instskip(SKIP_1) | instid1(VALU_DEP_2)
	v_mbcnt_lo_u32_b32 v80, v3, 0
	v_cmp_ne_u32_e64 s0, 0, v3
	v_cmp_eq_u32_e32 vcc_lo, 0, v80
	s_delay_alu instid0(VALU_DEP_2) | instskip(NEXT) | instid1(SALU_CYCLE_1)
	s_and_b32 s4, s0, vcc_lo
	s_and_saveexec_b32 s0, s4
	s_cbranch_execz .LBB25_191
; %bb.190:
	s_waitcnt lgkmcnt(0)
	v_bcnt_u32_b32 v3, v3, v79
	ds_store_b32 v81, v3 offset:32
.LBB25_191:
	s_or_b32 exec_lo, exec_lo, s0
	v_xor_b32_e32 v9, 0x80000000, v9
	; wave barrier
	s_delay_alu instid0(VALU_DEP_1) | instskip(NEXT) | instid1(VALU_DEP_1)
	v_lshrrev_b64 v[36:37], s48, v[8:9]
	v_and_b32_e32 v3, s1, v36
	s_delay_alu instid0(VALU_DEP_1)
	v_and_b32_e32 v36, 1, v3
	v_lshlrev_b32_e32 v37, 30, v3
	v_lshlrev_b32_e32 v38, 29, v3
	;; [unrolled: 1-line block ×4, first 2 shown]
	v_add_co_u32 v36, s0, v36, -1
	s_delay_alu instid0(VALU_DEP_1)
	v_cndmask_b32_e64 v40, 0, 1, s0
	v_not_b32_e32 v84, v37
	v_cmp_gt_i32_e64 s0, 0, v37
	v_not_b32_e32 v37, v38
	v_lshlrev_b32_e32 v82, 26, v3
	v_cmp_ne_u32_e32 vcc_lo, 0, v40
	v_ashrrev_i32_e32 v84, 31, v84
	v_lshlrev_b32_e32 v83, 25, v3
	v_ashrrev_i32_e32 v37, 31, v37
	v_lshlrev_b32_e32 v40, 24, v3
	v_xor_b32_e32 v36, vcc_lo, v36
	v_cmp_gt_i32_e32 vcc_lo, 0, v38
	v_not_b32_e32 v38, v39
	v_xor_b32_e32 v84, s0, v84
	v_cmp_gt_i32_e64 s0, 0, v39
	v_and_b32_e32 v36, exec_lo, v36
	v_not_b32_e32 v39, v41
	v_ashrrev_i32_e32 v38, 31, v38
	v_xor_b32_e32 v37, vcc_lo, v37
	v_cmp_gt_i32_e32 vcc_lo, 0, v41
	v_and_b32_e32 v36, v36, v84
	v_not_b32_e32 v41, v82
	v_ashrrev_i32_e32 v39, 31, v39
	v_xor_b32_e32 v38, s0, v38
	v_cmp_gt_i32_e64 s0, 0, v82
	v_and_b32_e32 v36, v36, v37
	v_not_b32_e32 v37, v83
	v_ashrrev_i32_e32 v41, 31, v41
	v_xor_b32_e32 v39, vcc_lo, v39
	v_cmp_gt_i32_e32 vcc_lo, 0, v83
	v_and_b32_e32 v36, v36, v38
	v_not_b32_e32 v38, v40
	v_ashrrev_i32_e32 v37, 31, v37
	v_xor_b32_e32 v41, s0, v41
	v_lshl_add_u32 v3, v3, 3, v3
	v_and_b32_e32 v36, v36, v39
	v_cmp_gt_i32_e64 s0, 0, v40
	v_ashrrev_i32_e32 v38, 31, v38
	v_xor_b32_e32 v37, vcc_lo, v37
	v_add_lshl_u32 v84, v2, v3, 2
	v_and_b32_e32 v36, v36, v41
	s_delay_alu instid0(VALU_DEP_4) | instskip(SKIP_2) | instid1(VALU_DEP_1)
	v_xor_b32_e32 v3, s0, v38
	ds_load_b32 v82, v84 offset:32
	v_and_b32_e32 v36, v36, v37
	; wave barrier
	v_and_b32_e32 v3, v36, v3
	s_delay_alu instid0(VALU_DEP_1) | instskip(SKIP_1) | instid1(VALU_DEP_2)
	v_mbcnt_lo_u32_b32 v83, v3, 0
	v_cmp_ne_u32_e64 s0, 0, v3
	v_cmp_eq_u32_e32 vcc_lo, 0, v83
	s_delay_alu instid0(VALU_DEP_2) | instskip(NEXT) | instid1(SALU_CYCLE_1)
	s_and_b32 s4, s0, vcc_lo
	s_and_saveexec_b32 s0, s4
	s_cbranch_execz .LBB25_193
; %bb.192:
	s_waitcnt lgkmcnt(0)
	v_bcnt_u32_b32 v3, v3, v82
	ds_store_b32 v84, v3 offset:32
.LBB25_193:
	s_or_b32 exec_lo, exec_lo, s0
	v_xor_b32_e32 v7, 0x80000000, v7
	; wave barrier
	s_delay_alu instid0(VALU_DEP_1) | instskip(NEXT) | instid1(VALU_DEP_1)
	v_lshrrev_b64 v[36:37], s48, v[6:7]
	v_and_b32_e32 v3, s1, v36
	s_delay_alu instid0(VALU_DEP_1)
	v_and_b32_e32 v36, 1, v3
	v_lshlrev_b32_e32 v37, 30, v3
	v_lshlrev_b32_e32 v38, 29, v3
	;; [unrolled: 1-line block ×4, first 2 shown]
	v_add_co_u32 v36, s0, v36, -1
	s_delay_alu instid0(VALU_DEP_1)
	v_cndmask_b32_e64 v40, 0, 1, s0
	v_not_b32_e32 v87, v37
	v_cmp_gt_i32_e64 s0, 0, v37
	v_not_b32_e32 v37, v38
	v_lshlrev_b32_e32 v85, 26, v3
	v_cmp_ne_u32_e32 vcc_lo, 0, v40
	v_ashrrev_i32_e32 v87, 31, v87
	v_lshlrev_b32_e32 v86, 25, v3
	v_ashrrev_i32_e32 v37, 31, v37
	v_lshlrev_b32_e32 v40, 24, v3
	v_xor_b32_e32 v36, vcc_lo, v36
	v_cmp_gt_i32_e32 vcc_lo, 0, v38
	v_not_b32_e32 v38, v39
	v_xor_b32_e32 v87, s0, v87
	v_cmp_gt_i32_e64 s0, 0, v39
	v_and_b32_e32 v36, exec_lo, v36
	v_not_b32_e32 v39, v41
	v_ashrrev_i32_e32 v38, 31, v38
	v_xor_b32_e32 v37, vcc_lo, v37
	v_cmp_gt_i32_e32 vcc_lo, 0, v41
	v_and_b32_e32 v36, v36, v87
	v_not_b32_e32 v41, v85
	v_ashrrev_i32_e32 v39, 31, v39
	v_xor_b32_e32 v38, s0, v38
	v_cmp_gt_i32_e64 s0, 0, v85
	v_and_b32_e32 v36, v36, v37
	v_not_b32_e32 v37, v86
	v_ashrrev_i32_e32 v41, 31, v41
	v_xor_b32_e32 v39, vcc_lo, v39
	v_cmp_gt_i32_e32 vcc_lo, 0, v86
	v_and_b32_e32 v36, v36, v38
	v_not_b32_e32 v38, v40
	v_ashrrev_i32_e32 v37, 31, v37
	v_xor_b32_e32 v41, s0, v41
	v_lshl_add_u32 v3, v3, 3, v3
	v_and_b32_e32 v36, v36, v39
	v_cmp_gt_i32_e64 s0, 0, v40
	v_ashrrev_i32_e32 v38, 31, v38
	v_xor_b32_e32 v37, vcc_lo, v37
	v_add_lshl_u32 v87, v2, v3, 2
	v_and_b32_e32 v36, v36, v41
	s_delay_alu instid0(VALU_DEP_4) | instskip(SKIP_2) | instid1(VALU_DEP_1)
	v_xor_b32_e32 v3, s0, v38
	ds_load_b32 v85, v87 offset:32
	v_and_b32_e32 v36, v36, v37
	; wave barrier
	v_and_b32_e32 v3, v36, v3
	s_delay_alu instid0(VALU_DEP_1) | instskip(SKIP_1) | instid1(VALU_DEP_2)
	v_mbcnt_lo_u32_b32 v86, v3, 0
	v_cmp_ne_u32_e64 s0, 0, v3
	v_cmp_eq_u32_e32 vcc_lo, 0, v86
	s_delay_alu instid0(VALU_DEP_2) | instskip(NEXT) | instid1(SALU_CYCLE_1)
	s_and_b32 s4, s0, vcc_lo
	s_and_saveexec_b32 s0, s4
	s_cbranch_execz .LBB25_195
; %bb.194:
	s_waitcnt lgkmcnt(0)
	v_bcnt_u32_b32 v3, v3, v85
	ds_store_b32 v87, v3 offset:32
.LBB25_195:
	s_or_b32 exec_lo, exec_lo, s0
	v_xor_b32_e32 v5, 0x80000000, v5
	; wave barrier
	v_add_nc_u32_e32 v91, 32, v44
	s_delay_alu instid0(VALU_DEP_2) | instskip(NEXT) | instid1(VALU_DEP_1)
	v_lshrrev_b64 v[36:37], s48, v[4:5]
	v_and_b32_e32 v3, s1, v36
	s_delay_alu instid0(VALU_DEP_1)
	v_and_b32_e32 v36, 1, v3
	v_lshlrev_b32_e32 v37, 30, v3
	v_lshlrev_b32_e32 v38, 29, v3
	v_lshlrev_b32_e32 v39, 28, v3
	v_lshlrev_b32_e32 v41, 27, v3
	v_add_co_u32 v36, s0, v36, -1
	s_delay_alu instid0(VALU_DEP_1)
	v_cndmask_b32_e64 v40, 0, 1, s0
	v_not_b32_e32 v90, v37
	v_cmp_gt_i32_e64 s0, 0, v37
	v_not_b32_e32 v37, v38
	v_lshlrev_b32_e32 v88, 26, v3
	v_cmp_ne_u32_e32 vcc_lo, 0, v40
	v_ashrrev_i32_e32 v90, 31, v90
	v_lshlrev_b32_e32 v89, 25, v3
	v_ashrrev_i32_e32 v37, 31, v37
	v_lshlrev_b32_e32 v40, 24, v3
	v_xor_b32_e32 v36, vcc_lo, v36
	v_cmp_gt_i32_e32 vcc_lo, 0, v38
	v_not_b32_e32 v38, v39
	v_xor_b32_e32 v90, s0, v90
	v_cmp_gt_i32_e64 s0, 0, v39
	v_and_b32_e32 v36, exec_lo, v36
	v_not_b32_e32 v39, v41
	v_ashrrev_i32_e32 v38, 31, v38
	v_xor_b32_e32 v37, vcc_lo, v37
	v_cmp_gt_i32_e32 vcc_lo, 0, v41
	v_and_b32_e32 v36, v36, v90
	v_not_b32_e32 v41, v88
	v_ashrrev_i32_e32 v39, 31, v39
	v_xor_b32_e32 v38, s0, v38
	v_cmp_gt_i32_e64 s0, 0, v88
	v_and_b32_e32 v36, v36, v37
	v_not_b32_e32 v37, v89
	v_ashrrev_i32_e32 v41, 31, v41
	v_xor_b32_e32 v39, vcc_lo, v39
	v_cmp_gt_i32_e32 vcc_lo, 0, v89
	v_and_b32_e32 v36, v36, v38
	v_not_b32_e32 v38, v40
	v_ashrrev_i32_e32 v37, 31, v37
	v_xor_b32_e32 v41, s0, v41
	v_lshl_add_u32 v3, v3, 3, v3
	v_and_b32_e32 v36, v36, v39
	v_cmp_gt_i32_e64 s0, 0, v40
	v_ashrrev_i32_e32 v38, 31, v38
	v_xor_b32_e32 v37, vcc_lo, v37
	v_add_lshl_u32 v90, v2, v3, 2
	v_and_b32_e32 v36, v36, v41
	s_delay_alu instid0(VALU_DEP_4) | instskip(SKIP_2) | instid1(VALU_DEP_1)
	v_xor_b32_e32 v2, s0, v38
	ds_load_b32 v88, v90 offset:32
	v_and_b32_e32 v3, v36, v37
	; wave barrier
	v_and_b32_e32 v2, v3, v2
	s_delay_alu instid0(VALU_DEP_1) | instskip(SKIP_1) | instid1(VALU_DEP_2)
	v_mbcnt_lo_u32_b32 v89, v2, 0
	v_cmp_ne_u32_e64 s0, 0, v2
	v_cmp_eq_u32_e32 vcc_lo, 0, v89
	s_delay_alu instid0(VALU_DEP_2) | instskip(NEXT) | instid1(SALU_CYCLE_1)
	s_and_b32 s4, s0, vcc_lo
	s_and_saveexec_b32 s0, s4
	s_cbranch_execz .LBB25_197
; %bb.196:
	s_waitcnt lgkmcnt(0)
	v_bcnt_u32_b32 v2, v2, v88
	ds_store_b32 v90, v2 offset:32
.LBB25_197:
	s_or_b32 exec_lo, exec_lo, s0
	; wave barrier
	s_waitcnt lgkmcnt(0)
	s_barrier
	buffer_gl0_inv
	ds_load_2addr_b32 v[40:41], v44 offset0:8 offset1:9
	ds_load_2addr_b32 v[38:39], v91 offset0:2 offset1:3
	;; [unrolled: 1-line block ×4, first 2 shown]
	ds_load_b32 v92, v91 offset:32
	v_bfe_i32 v95, v42, 4, 1
	s_mov_b32 s0, exec_lo
	s_waitcnt lgkmcnt(3)
	v_add3_u32 v93, v41, v40, v38
	s_waitcnt lgkmcnt(2)
	s_delay_alu instid0(VALU_DEP_1) | instskip(SKIP_1) | instid1(VALU_DEP_1)
	v_add3_u32 v93, v93, v39, v36
	s_waitcnt lgkmcnt(1)
	v_add3_u32 v93, v93, v37, v2
	s_waitcnt lgkmcnt(0)
	s_delay_alu instid0(VALU_DEP_1) | instskip(SKIP_1) | instid1(VALU_DEP_2)
	v_add3_u32 v92, v93, v3, v92
	v_and_b32_e32 v93, 15, v42
	v_mov_b32_dpp v94, v92 row_shr:1 row_mask:0xf bank_mask:0xf
	s_delay_alu instid0(VALU_DEP_2) | instskip(NEXT) | instid1(VALU_DEP_2)
	v_cmp_ne_u32_e32 vcc_lo, 0, v93
	v_cndmask_b32_e32 v94, 0, v94, vcc_lo
	v_cmp_lt_u32_e32 vcc_lo, 1, v93
	s_delay_alu instid0(VALU_DEP_2) | instskip(NEXT) | instid1(VALU_DEP_1)
	v_add_nc_u32_e32 v92, v94, v92
	v_mov_b32_dpp v94, v92 row_shr:2 row_mask:0xf bank_mask:0xf
	s_delay_alu instid0(VALU_DEP_1) | instskip(SKIP_1) | instid1(VALU_DEP_2)
	v_cndmask_b32_e32 v94, 0, v94, vcc_lo
	v_cmp_lt_u32_e32 vcc_lo, 3, v93
	v_add_nc_u32_e32 v92, v92, v94
	s_delay_alu instid0(VALU_DEP_1) | instskip(NEXT) | instid1(VALU_DEP_1)
	v_mov_b32_dpp v94, v92 row_shr:4 row_mask:0xf bank_mask:0xf
	v_cndmask_b32_e32 v94, 0, v94, vcc_lo
	v_cmp_lt_u32_e32 vcc_lo, 7, v93
	s_delay_alu instid0(VALU_DEP_2) | instskip(NEXT) | instid1(VALU_DEP_1)
	v_add_nc_u32_e32 v92, v92, v94
	v_mov_b32_dpp v94, v92 row_shr:8 row_mask:0xf bank_mask:0xf
	s_delay_alu instid0(VALU_DEP_1) | instskip(NEXT) | instid1(VALU_DEP_1)
	v_dual_cndmask_b32 v93, 0, v94 :: v_dual_and_b32 v94, 0x3e0, v1
	v_add_nc_u32_e32 v92, v92, v93
	s_delay_alu instid0(VALU_DEP_2)
	v_min_u32_e32 v94, 0xe0, v94
	ds_swizzle_b32 v93, v92 offset:swizzle(BROADCAST,32,15)
	v_or_b32_e32 v94, 31, v94
	s_waitcnt lgkmcnt(0)
	v_and_b32_e32 v95, v95, v93
	v_lshrrev_b32_e32 v93, 5, v1
	s_delay_alu instid0(VALU_DEP_2)
	v_add_nc_u32_e32 v92, v92, v95
	v_cmpx_eq_u32_e64 v94, v1
	s_cbranch_execz .LBB25_199
; %bb.198:
	s_delay_alu instid0(VALU_DEP_3)
	v_lshlrev_b32_e32 v94, 2, v93
	ds_store_b32 v94, v92
.LBB25_199:
	s_or_b32 exec_lo, exec_lo, s0
	s_delay_alu instid0(SALU_CYCLE_1)
	s_mov_b32 s0, exec_lo
	s_waitcnt lgkmcnt(0)
	s_barrier
	buffer_gl0_inv
	v_cmpx_gt_u32_e32 8, v1
	s_cbranch_execz .LBB25_201
; %bb.200:
	v_lshlrev_b32_e32 v94, 2, v1
	ds_load_b32 v95, v94
	s_waitcnt lgkmcnt(0)
	v_mov_b32_dpp v97, v95 row_shr:1 row_mask:0xf bank_mask:0xf
	v_and_b32_e32 v96, 7, v42
	s_delay_alu instid0(VALU_DEP_1) | instskip(NEXT) | instid1(VALU_DEP_3)
	v_cmp_ne_u32_e32 vcc_lo, 0, v96
	v_cndmask_b32_e32 v97, 0, v97, vcc_lo
	v_cmp_lt_u32_e32 vcc_lo, 1, v96
	s_delay_alu instid0(VALU_DEP_2) | instskip(NEXT) | instid1(VALU_DEP_1)
	v_add_nc_u32_e32 v95, v97, v95
	v_mov_b32_dpp v97, v95 row_shr:2 row_mask:0xf bank_mask:0xf
	s_delay_alu instid0(VALU_DEP_1) | instskip(SKIP_1) | instid1(VALU_DEP_2)
	v_cndmask_b32_e32 v97, 0, v97, vcc_lo
	v_cmp_lt_u32_e32 vcc_lo, 3, v96
	v_add_nc_u32_e32 v95, v95, v97
	s_delay_alu instid0(VALU_DEP_1) | instskip(NEXT) | instid1(VALU_DEP_1)
	v_mov_b32_dpp v97, v95 row_shr:4 row_mask:0xf bank_mask:0xf
	v_cndmask_b32_e32 v96, 0, v97, vcc_lo
	s_delay_alu instid0(VALU_DEP_1)
	v_add_nc_u32_e32 v95, v95, v96
	ds_store_b32 v94, v95
.LBB25_201:
	s_or_b32 exec_lo, exec_lo, s0
	v_mov_b32_e32 v94, 0
	s_mov_b32 s0, exec_lo
	s_waitcnt lgkmcnt(0)
	s_barrier
	buffer_gl0_inv
	v_cmpx_lt_u32_e32 31, v1
	s_cbranch_execz .LBB25_203
; %bb.202:
	v_lshl_add_u32 v93, v93, 2, -4
	ds_load_b32 v94, v93
.LBB25_203:
	s_or_b32 exec_lo, exec_lo, s0
	v_add_nc_u32_e32 v93, -1, v42
	s_mov_b32 s0, 0
	s_mov_b32 s4, exec_lo
	s_waitcnt lgkmcnt(0)
	v_add_nc_u32_e32 v92, v94, v92
	v_cmp_gt_i32_e32 vcc_lo, 0, v93
	v_cndmask_b32_e32 v93, v93, v42, vcc_lo
	v_cmp_eq_u32_e32 vcc_lo, 0, v42
	s_delay_alu instid0(VALU_DEP_2) | instskip(SKIP_4) | instid1(VALU_DEP_2)
	v_lshlrev_b32_e32 v93, 2, v93
	ds_bpermute_b32 v92, v93, v92
	s_waitcnt lgkmcnt(0)
	v_cndmask_b32_e32 v92, v92, v94, vcc_lo
	v_cmp_ne_u32_e32 vcc_lo, 0, v1
	v_cndmask_b32_e32 v92, 0, v92, vcc_lo
	s_delay_alu instid0(VALU_DEP_1) | instskip(NEXT) | instid1(VALU_DEP_1)
	v_add_nc_u32_e32 v40, v92, v40
	v_add_nc_u32_e32 v41, v40, v41
	s_delay_alu instid0(VALU_DEP_1) | instskip(NEXT) | instid1(VALU_DEP_1)
	v_add_nc_u32_e32 v38, v41, v38
	v_add_nc_u32_e32 v39, v38, v39
	;; [unrolled: 3-line block ×4, first 2 shown]
	ds_store_2addr_b32 v44, v92, v40 offset0:8 offset1:9
	ds_store_2addr_b32 v91, v41, v38 offset0:2 offset1:3
	;; [unrolled: 1-line block ×4, first 2 shown]
	ds_store_b32 v91, v3 offset:32
	v_mov_b32_e32 v2, 0x1000
	s_waitcnt lgkmcnt(0)
	s_barrier
	buffer_gl0_inv
	ds_load_b32 v36, v48 offset:32
	ds_load_b32 v37, v51 offset:32
	;; [unrolled: 1-line block ×17, first 2 shown]
	v_add_nc_u32_e32 v44, 1, v1
	s_delay_alu instid0(VALU_DEP_1)
	v_cmpx_ne_u32_e32 0x100, v44
	s_cbranch_execz .LBB25_205
; %bb.204:
	v_mul_u32_u24_e32 v2, 9, v44
	s_delay_alu instid0(VALU_DEP_1)
	v_lshlrev_b32_e32 v2, 2, v2
	ds_load_b32 v2, v2 offset:32
.LBB25_205:
	s_or_b32 exec_lo, exec_lo, s4
	s_waitcnt lgkmcnt(1)
	v_add_nc_u32_e32 v0, v45, v0
	v_add3_u32 v36, v47, v46, v36
	v_add3_u32 v37, v50, v49, v37
	;; [unrolled: 1-line block ×4, first 2 shown]
	v_lshlrev_b32_e32 v53, 3, v0
	v_lshlrev_b32_e32 v54, 3, v36
	v_add3_u32 v39, v56, v55, v39
	v_add3_u32 v40, v59, v58, v40
	;; [unrolled: 1-line block ×4, first 2 shown]
	s_waitcnt lgkmcnt(0)
	s_barrier
	buffer_gl0_inv
	ds_store_b64 v53, v[12:13] offset:2048
	ds_store_b64 v54, v[34:35] offset:2048
	v_lshlrev_b32_e32 v12, 3, v37
	v_add3_u32 v45, v68, v67, v51
	v_lshlrev_b32_e32 v13, 3, v38
	v_lshlrev_b32_e32 v34, 3, v39
	v_add3_u32 v47, v74, v73, v57
	v_lshlrev_b32_e32 v35, 3, v40
	v_add3_u32 v48, v77, v76, v60
	;; [unrolled: 2-line block ×3, first 2 shown]
	ds_store_b64 v12, v[32:33] offset:2048
	ds_store_b64 v13, v[30:31] offset:2048
	;; [unrolled: 1-line block ×5, first 2 shown]
	v_lshlrev_b32_e32 v12, 3, v44
	v_lshlrev_b32_e32 v13, 3, v45
	v_lshlrev_b32_e32 v24, 3, v46
	v_lshlrev_b32_e32 v25, 3, v47
	v_lshlrev_b32_e32 v26, 3, v48
	ds_store_b64 v12, v[22:23] offset:2048
	ds_store_b64 v13, v[20:21] offset:2048
	;; [unrolled: 1-line block ×5, first 2 shown]
	v_lshlrev_b32_e32 v14, 3, v49
	v_lshl_add_u32 v12, s15, 8, v1
	v_mov_b32_e32 v13, 0
	v_add3_u32 v50, v83, v82, v66
	v_add3_u32 v51, v86, v85, v69
	;; [unrolled: 1-line block ×3, first 2 shown]
	ds_store_b64 v14, v[10:11] offset:2048
	v_lshlrev_b64 v[11:12], 2, v[12:13]
	v_lshlrev_b32_e32 v15, 3, v50
	v_lshlrev_b32_e32 v16, 3, v51
	;; [unrolled: 1-line block ×3, first 2 shown]
	v_sub_nc_u32_e32 v10, v2, v3
	v_mov_b32_e32 v2, 0
	ds_store_b64 v15, v[8:9] offset:2048
	ds_store_b64 v16, v[6:7] offset:2048
	;; [unrolled: 1-line block ×3, first 2 shown]
	v_add_co_u32 v4, vcc_lo, s52, v11
	v_add_co_ci_u32_e32 v5, vcc_lo, s53, v12, vcc_lo
	v_or_b32_e32 v6, 2.0, v10
	s_waitcnt lgkmcnt(0)
	s_barrier
	buffer_gl0_inv
                                        ; implicit-def: $sgpr4
	global_store_b32 v[4:5], v6, off
	s_branch .LBB25_208
	.p2align	6
.LBB25_206:                             ;   in Loop: Header=BB25_208 Depth=1
	s_or_b32 exec_lo, exec_lo, s5
.LBB25_207:                             ;   in Loop: Header=BB25_208 Depth=1
	s_delay_alu instid0(SALU_CYCLE_1) | instskip(SKIP_2) | instid1(VALU_DEP_2)
	s_or_b32 exec_lo, exec_lo, s4
	v_and_b32_e32 v6, 0x3fffffff, v9
	v_cmp_eq_u32_e64 s4, 0x80000000, v8
	v_add_nc_u32_e32 v2, v6, v2
	s_delay_alu instid0(VALU_DEP_2) | instskip(NEXT) | instid1(SALU_CYCLE_1)
	s_and_b32 s5, exec_lo, s4
	s_or_b32 s0, s5, s0
	s_delay_alu instid0(SALU_CYCLE_1)
	s_and_not1_b32 exec_lo, exec_lo, s0
	s_cbranch_execz .LBB25_213
.LBB25_208:                             ; =>This Loop Header: Depth=1
                                        ;     Child Loop BB25_211 Depth 2
	s_or_b32 s4, s4, exec_lo
	s_cmp_eq_u32 s54, 0
	s_cbranch_scc1 .LBB25_212
; %bb.209:                              ;   in Loop: Header=BB25_208 Depth=1
	s_add_i32 s54, s54, -1
	s_mov_b32 s4, exec_lo
	v_lshl_add_u32 v12, s54, 8, v1
	s_delay_alu instid0(VALU_DEP_1) | instskip(NEXT) | instid1(VALU_DEP_1)
	v_lshlrev_b64 v[6:7], 2, v[12:13]
	v_add_co_u32 v6, vcc_lo, s52, v6
	s_delay_alu instid0(VALU_DEP_2) | instskip(SKIP_3) | instid1(VALU_DEP_1)
	v_add_co_ci_u32_e32 v7, vcc_lo, s53, v7, vcc_lo
	global_load_b32 v9, v[6:7], off glc
	s_waitcnt vmcnt(0)
	v_and_b32_e32 v8, -2.0, v9
	v_cmpx_eq_u32_e32 0, v8
	s_cbranch_execz .LBB25_207
; %bb.210:                              ;   in Loop: Header=BB25_208 Depth=1
	s_mov_b32 s5, 0
.LBB25_211:                             ;   Parent Loop BB25_208 Depth=1
                                        ; =>  This Inner Loop Header: Depth=2
	global_load_b32 v9, v[6:7], off glc
	s_waitcnt vmcnt(0)
	v_and_b32_e32 v8, -2.0, v9
	s_delay_alu instid0(VALU_DEP_1) | instskip(SKIP_1) | instid1(SALU_CYCLE_1)
	v_cmp_ne_u32_e32 vcc_lo, 0, v8
	s_or_b32 s5, vcc_lo, s5
	s_and_not1_b32 exec_lo, exec_lo, s5
	s_cbranch_execnz .LBB25_211
	s_branch .LBB25_206
.LBB25_212:                             ;   in Loop: Header=BB25_208 Depth=1
                                        ; implicit-def: $sgpr54
	s_and_b32 s5, exec_lo, s4
	s_delay_alu instid0(SALU_CYCLE_1) | instskip(NEXT) | instid1(SALU_CYCLE_1)
	s_or_b32 s0, s5, s0
	s_and_not1_b32 exec_lo, exec_lo, s0
	s_cbranch_execnz .LBB25_208
.LBB25_213:
	s_or_b32 exec_lo, exec_lo, s0
	v_add_nc_u32_e32 v6, v2, v10
	v_lshlrev_b32_e32 v8, 3, v1
	v_sub_co_u32 v2, s0, v2, v3
	s_delay_alu instid0(VALU_DEP_3) | instskip(NEXT) | instid1(VALU_DEP_3)
	v_or_b32_e32 v6, 0x80000000, v6
	v_add_nc_u32_e32 v35, 0x1000, v8
	v_add_nc_u32_e32 v89, 0x1800, v8
	;; [unrolled: 1-line block ×4, first 2 shown]
	global_store_b32 v[4:5], v6, off
	global_load_b64 v[4:5], v8, s[44:45]
	v_sub_co_ci_u32_e64 v6, null, 0, 0, s0
	s_add_u32 s0, s40, s2
	s_addc_u32 s2, s41, 0
	v_add_co_u32 v9, s0, s0, v42
	s_delay_alu instid0(VALU_DEP_1)
	v_add_co_ci_u32_e64 v23, null, s2, 0, s0
	v_add_nc_u32_e32 v92, 0x3800, v8
	v_or_b32_e32 v93, 0x4000, v8
	v_add_nc_u32_e32 v94, 0x4800, v8
	v_add_nc_u32_e32 v95, 0x5000, v8
	;; [unrolled: 1-line block ×3, first 2 shown]
	v_or_b32_e32 v97, 0x6000, v8
	v_add_nc_u32_e32 v98, 0x6800, v8
	v_add_nc_u32_e32 v99, 0x7000, v8
	;; [unrolled: 1-line block ×3, first 2 shown]
	s_add_i32 s3, s3, -1
	s_delay_alu instid0(SALU_CYCLE_1)
	s_cmp_eq_u32 s15, s3
	s_cselect_b32 s2, -1, 0
	s_waitcnt vmcnt(0)
	v_add_co_u32 v4, vcc_lo, v2, v4
	v_add_co_ci_u32_e32 v5, vcc_lo, v6, v5, vcc_lo
	v_add_co_u32 v42, vcc_lo, v9, v43
	v_add_co_ci_u32_e32 v43, vcc_lo, 0, v23, vcc_lo
	ds_store_b64 v8, v[4:5]
	s_waitcnt lgkmcnt(0)
	s_waitcnt_vscnt null, 0x0
	s_barrier
	buffer_gl0_inv
	ds_load_2addr_stride64_b64 v[4:7], v8 offset0:4 offset1:8
	ds_load_2addr_stride64_b64 v[11:14], v8 offset0:12 offset1:16
	;; [unrolled: 1-line block ×8, first 2 shown]
	v_or_b32_e32 v2, 0x2000, v8
	s_waitcnt lgkmcnt(7)
	v_lshrrev_b64 v[57:58], s48, v[4:5]
	v_lshrrev_b64 v[58:59], s48, v[6:7]
	s_waitcnt lgkmcnt(6)
	v_lshrrev_b64 v[59:60], s48, v[11:12]
	v_lshrrev_b64 v[60:61], s48, v[13:14]
	;; [unrolled: 3-line block ×8, first 2 shown]
	v_and_b32_e32 v9, s1, v57
	v_and_b32_e32 v57, s1, v58
	;; [unrolled: 1-line block ×16, first 2 shown]
	v_lshlrev_b32_e32 v9, 3, v9
	v_lshlrev_b32_e32 v101, 3, v57
	;; [unrolled: 1-line block ×16, first 2 shown]
	ds_load_b64 v[57:58], v9
	ds_load_b64 v[59:60], v101
	ds_load_b64 v[61:62], v102
	ds_load_b64 v[63:64], v103
	ds_load_b64 v[65:66], v104
	ds_load_b64 v[67:68], v105
	ds_load_b64 v[69:70], v106
	ds_load_b64 v[71:72], v107
	ds_load_b64 v[73:74], v108
	ds_load_b64 v[75:76], v109
	ds_load_b64 v[77:78], v110
	ds_load_b64 v[79:80], v111
	ds_load_b64 v[81:82], v112
	ds_load_b64 v[83:84], v113
	ds_load_b64 v[85:86], v114
	ds_load_b64 v[87:88], v115
	v_xor_b32_e32 v5, 0x80000000, v5
	v_xor_b32_e32 v7, 0x80000000, v7
	;; [unrolled: 1-line block ×4, first 2 shown]
	s_waitcnt lgkmcnt(15)
	v_lshlrev_b64 v[57:58], 3, v[57:58]
	s_waitcnt lgkmcnt(14)
	v_lshlrev_b64 v[59:60], 3, v[59:60]
	;; [unrolled: 2-line block ×6, first 2 shown]
	v_add_co_u32 v57, vcc_lo, s38, v57
	v_add_co_ci_u32_e32 v58, vcc_lo, s39, v58, vcc_lo
	v_add_co_u32 v59, vcc_lo, s38, v59
	v_add_co_ci_u32_e32 v60, vcc_lo, s39, v60, vcc_lo
	;; [unrolled: 2-line block ×4, first 2 shown]
	s_waitcnt lgkmcnt(9)
	v_lshlrev_b64 v[69:70], 3, v[69:70]
	v_add_co_u32 v65, vcc_lo, s38, v65
	v_add_co_ci_u32_e32 v66, vcc_lo, s39, v66, vcc_lo
	s_waitcnt lgkmcnt(8)
	v_lshlrev_b64 v[71:72], 3, v[71:72]
	v_add_co_u32 v67, vcc_lo, s38, v67
	v_add_co_ci_u32_e32 v68, vcc_lo, s39, v68, vcc_lo
	;; [unrolled: 4-line block ×10, first 2 shown]
	v_add_co_u32 v85, vcc_lo, s38, v85
	v_add_co_ci_u32_e32 v86, vcc_lo, s39, v86, vcc_lo
	v_add_co_u32 v87, vcc_lo, s38, v87
	v_add_co_ci_u32_e32 v88, vcc_lo, s39, v88, vcc_lo
	;; [unrolled: 2-line block ×17, first 2 shown]
	v_add_co_u32 v87, vcc_lo, v87, v100
	v_xor_b32_e32 v16, 0x80000000, v16
	v_xor_b32_e32 v18, 0x80000000, v18
	;; [unrolled: 1-line block ×12, first 2 shown]
	v_add_co_ci_u32_e32 v88, vcc_lo, 0, v88, vcc_lo
	s_clause 0xf
	global_store_b64 v[57:58], v[4:5], off
	global_store_b64 v[59:60], v[6:7], off offset:2048
	global_store_b64 v[61:62], v[11:12], off
	global_store_b64 v[63:64], v[13:14], off
	;; [unrolled: 1-line block ×14, first 2 shown]
	s_clause 0xf
	global_load_u8 v5, v[42:43], off
	global_load_u8 v6, v[42:43], off offset:32
	global_load_u8 v7, v[42:43], off offset:64
	;; [unrolled: 1-line block ×15, first 2 shown]
	s_waitcnt vmcnt(0)
	s_waitcnt_vscnt null, 0x0
	s_barrier
	buffer_gl0_inv
	v_mov_b32_e32 v2, 0
	ds_store_b8 v0, v5 offset:2048
	ds_store_b8 v36, v6 offset:2048
	ds_store_b8 v37, v7 offset:2048
	ds_store_b8 v38, v11 offset:2048
	ds_store_b8 v39, v12 offset:2048
	ds_store_b8 v40, v13 offset:2048
	ds_store_b8 v41, v14 offset:2048
	ds_store_b8 v44, v15 offset:2048
	ds_store_b8 v45, v16 offset:2048
	ds_store_b8 v46, v17 offset:2048
	ds_store_b8 v47, v18 offset:2048
	ds_store_b8 v48, v19 offset:2048
	ds_store_b8 v49, v20 offset:2048
	ds_store_b8 v50, v21 offset:2048
	ds_store_b8 v51, v22 offset:2048
	ds_store_b8 v52, v23 offset:2048
	v_mov_b32_e32 v4, v2
	s_waitcnt lgkmcnt(0)
	s_barrier
	buffer_gl0_inv
	ds_load_b64 v[5:6], v9
	ds_load_b64 v[11:12], v101
	;; [unrolled: 1-line block ×4, first 2 shown]
	ds_load_u8 v0, v1 offset:2048
	ds_load_u8 v7, v1 offset:2304
	;; [unrolled: 1-line block ×8, first 2 shown]
	ds_load_b64 v[17:18], v104
	ds_load_b64 v[19:20], v105
	;; [unrolled: 1-line block ×8, first 2 shown]
	ds_load_u8 v46, v1 offset:4096
	ds_load_u8 v47, v1 offset:4352
	ds_load_u8 v48, v1 offset:4608
	ds_load_u8 v49, v1 offset:4864
	ds_load_u8 v50, v1 offset:5120
	ds_load_u8 v51, v1 offset:5376
	ds_load_u8 v52, v1 offset:5632
	ds_load_u8 v53, v1 offset:5888
	ds_load_b64 v[33:34], v112
	ds_load_b64 v[35:36], v113
	;; [unrolled: 1-line block ×4, first 2 shown]
	s_waitcnt lgkmcnt(31)
	v_add_co_u32 v5, vcc_lo, s42, v5
	v_add_co_ci_u32_e32 v6, vcc_lo, s43, v6, vcc_lo
	s_waitcnt lgkmcnt(30)
	v_add_co_u32 v11, vcc_lo, s42, v11
	v_add_co_ci_u32_e32 v12, vcc_lo, s43, v12, vcc_lo
	;; [unrolled: 3-line block ×16, first 2 shown]
	v_add_co_u32 v5, vcc_lo, v5, v1
	v_add_co_ci_u32_e32 v6, vcc_lo, 0, v6, vcc_lo
	v_add_co_u32 v11, vcc_lo, v11, v1
	v_add_co_ci_u32_e32 v12, vcc_lo, 0, v12, vcc_lo
	;; [unrolled: 2-line block ×16, first 2 shown]
	s_clause 0xf
	global_store_b8 v[5:6], v0, off
	global_store_b8 v[11:12], v7, off offset:256
	global_store_b8 v[13:14], v9, off offset:512
	;; [unrolled: 1-line block ×15, first 2 shown]
.LBB25_214:
	s_and_b32 vcc_lo, exec_lo, s2
	s_cbranch_vccnz .LBB25_216
; %bb.215:
	s_nop 0
	s_sendmsg sendmsg(MSG_DEALLOC_VGPRS)
	s_endpgm
.LBB25_216:
	ds_load_b64 v[5:6], v8
	v_lshlrev_b64 v[0:1], 3, v[1:2]
	v_add_co_u32 v2, vcc_lo, v3, v10
	v_add_co_ci_u32_e32 v3, vcc_lo, 0, v4, vcc_lo
	s_delay_alu instid0(VALU_DEP_3) | instskip(NEXT) | instid1(VALU_DEP_4)
	v_add_co_u32 v0, vcc_lo, s46, v0
	v_add_co_ci_u32_e32 v1, vcc_lo, s47, v1, vcc_lo
	s_waitcnt lgkmcnt(0)
	v_add_co_u32 v2, vcc_lo, v2, v5
	v_add_co_ci_u32_e32 v3, vcc_lo, v3, v6, vcc_lo
	global_store_b64 v[0:1], v[2:3], off
	s_nop 0
	s_sendmsg sendmsg(MSG_DEALLOC_VGPRS)
	s_endpgm
.LBB25_217:
	global_load_u8 v7, v[5:6], off
	s_or_b32 exec_lo, exec_lo, s35
                                        ; implicit-def: $vgpr9
	s_and_saveexec_b32 s35, s2
	s_cbranch_execz .LBB25_115
.LBB25_218:
	global_load_u8 v9, v[5:6], off offset:32
	s_or_b32 exec_lo, exec_lo, s35
                                        ; implicit-def: $vgpr11
	s_and_saveexec_b32 s2, s3
	s_cbranch_execz .LBB25_116
.LBB25_219:
	global_load_u8 v11, v[5:6], off offset:64
	s_or_b32 exec_lo, exec_lo, s2
                                        ; implicit-def: $vgpr12
	s_and_saveexec_b32 s2, s4
	s_cbranch_execz .LBB25_117
.LBB25_220:
	global_load_u8 v12, v[5:6], off offset:96
	s_or_b32 exec_lo, exec_lo, s2
                                        ; implicit-def: $vgpr13
	s_and_saveexec_b32 s2, s5
	s_cbranch_execz .LBB25_118
.LBB25_221:
	global_load_u8 v13, v[5:6], off offset:128
	s_or_b32 exec_lo, exec_lo, s2
                                        ; implicit-def: $vgpr14
	s_and_saveexec_b32 s2, s6
	s_cbranch_execz .LBB25_119
.LBB25_222:
	global_load_u8 v14, v[5:6], off offset:160
	s_or_b32 exec_lo, exec_lo, s2
                                        ; implicit-def: $vgpr15
	s_and_saveexec_b32 s2, s7
	s_cbranch_execz .LBB25_120
.LBB25_223:
	global_load_u8 v15, v[5:6], off offset:192
	s_or_b32 exec_lo, exec_lo, s2
                                        ; implicit-def: $vgpr16
	s_and_saveexec_b32 s2, s8
	s_cbranch_execz .LBB25_121
.LBB25_224:
	global_load_u8 v16, v[5:6], off offset:224
	s_or_b32 exec_lo, exec_lo, s2
                                        ; implicit-def: $vgpr17
	s_and_saveexec_b32 s2, s9
	s_cbranch_execz .LBB25_122
.LBB25_225:
	global_load_u8 v17, v[5:6], off offset:256
	s_or_b32 exec_lo, exec_lo, s2
                                        ; implicit-def: $vgpr18
	s_and_saveexec_b32 s2, s10
	s_cbranch_execz .LBB25_123
.LBB25_226:
	global_load_u8 v18, v[5:6], off offset:288
	s_or_b32 exec_lo, exec_lo, s2
                                        ; implicit-def: $vgpr19
	s_and_saveexec_b32 s2, s11
	s_cbranch_execz .LBB25_124
.LBB25_227:
	global_load_u8 v19, v[5:6], off offset:320
	s_or_b32 exec_lo, exec_lo, s2
                                        ; implicit-def: $vgpr22
	s_and_saveexec_b32 s2, s12
	s_cbranch_execz .LBB25_125
.LBB25_228:
	global_load_u8 v22, v[5:6], off offset:352
	s_or_b32 exec_lo, exec_lo, s2
                                        ; implicit-def: $vgpr25
	s_and_saveexec_b32 s2, s13
	s_cbranch_execz .LBB25_126
.LBB25_229:
	global_load_u8 v25, v[5:6], off offset:384
	s_or_b32 exec_lo, exec_lo, s2
                                        ; implicit-def: $vgpr29
	s_and_saveexec_b32 s2, s14
	s_cbranch_execz .LBB25_127
.LBB25_230:
	global_load_u8 v29, v[5:6], off offset:416
	s_or_b32 exec_lo, exec_lo, s2
                                        ; implicit-def: $vgpr33
	s_and_saveexec_b32 s2, s16
	s_cbranch_execz .LBB25_128
.LBB25_231:
	global_load_u8 v33, v[5:6], off offset:448
	s_or_b32 exec_lo, exec_lo, s2
                                        ; implicit-def: $vgpr54
	s_and_saveexec_b32 s2, s17
	s_cbranch_execz .LBB25_129
.LBB25_232:
	global_load_u8 v54, v[5:6], off offset:480
	s_or_b32 exec_lo, exec_lo, s2
                                        ; implicit-def: $vgpr55
	s_and_saveexec_b32 s2, s18
	s_cbranch_execz .LBB25_130
.LBB25_233:
	ds_load_b64 v[5:6], v8 offset:2048
	s_waitcnt lgkmcnt(0)
	v_lshrrev_b64 v[5:6], s48, v[5:6]
	s_delay_alu instid0(VALU_DEP_1)
	v_and_b32_e32 v55, s55, v5
	s_or_b32 exec_lo, exec_lo, s2
                                        ; implicit-def: $vgpr43
	s_and_saveexec_b32 s2, s19
	s_cbranch_execz .LBB25_131
.LBB25_234:
	v_lshlrev_b32_e32 v5, 3, v1
	ds_load_b64 v[5:6], v5 offset:4096
	s_waitcnt lgkmcnt(0)
	v_lshrrev_b64 v[5:6], s48, v[5:6]
	s_delay_alu instid0(VALU_DEP_1)
	v_and_b32_e32 v43, s55, v5
	s_or_b32 exec_lo, exec_lo, s2
                                        ; implicit-def: $vgpr35
	s_and_saveexec_b32 s2, s20
	s_cbranch_execz .LBB25_132
.LBB25_235:
	v_lshlrev_b32_e32 v5, 3, v1
	ds_load_b64 v[5:6], v5 offset:6144
	s_waitcnt lgkmcnt(0)
	v_lshrrev_b64 v[5:6], s48, v[5:6]
	s_delay_alu instid0(VALU_DEP_1)
	v_and_b32_e32 v35, s55, v5
	s_or_b32 exec_lo, exec_lo, s2
                                        ; implicit-def: $vgpr34
	s_and_saveexec_b32 s2, s21
	s_cbranch_execz .LBB25_133
.LBB25_236:
	v_lshlrev_b32_e32 v5, 3, v1
	ds_load_b64 v[5:6], v5 offset:8192
	s_waitcnt lgkmcnt(0)
	v_lshrrev_b64 v[5:6], s48, v[5:6]
	s_delay_alu instid0(VALU_DEP_1)
	v_and_b32_e32 v34, s55, v5
	s_or_b32 exec_lo, exec_lo, s2
                                        ; implicit-def: $vgpr32
	s_and_saveexec_b32 s2, s22
	s_cbranch_execz .LBB25_134
.LBB25_237:
	v_lshlrev_b32_e32 v5, 3, v1
	ds_load_b64 v[5:6], v5 offset:10240
	s_waitcnt lgkmcnt(0)
	v_lshrrev_b64 v[5:6], s48, v[5:6]
	s_delay_alu instid0(VALU_DEP_1)
	v_and_b32_e32 v32, s55, v5
	s_or_b32 exec_lo, exec_lo, s2
                                        ; implicit-def: $vgpr31
	s_and_saveexec_b32 s2, s23
	s_cbranch_execz .LBB25_135
.LBB25_238:
	v_lshlrev_b32_e32 v5, 3, v1
	ds_load_b64 v[5:6], v5 offset:12288
	s_waitcnt lgkmcnt(0)
	v_lshrrev_b64 v[5:6], s48, v[5:6]
	s_delay_alu instid0(VALU_DEP_1)
	v_and_b32_e32 v31, s55, v5
	s_or_b32 exec_lo, exec_lo, s2
                                        ; implicit-def: $vgpr30
	s_and_saveexec_b32 s2, s24
	s_cbranch_execz .LBB25_136
.LBB25_239:
	v_lshlrev_b32_e32 v5, 3, v1
	ds_load_b64 v[5:6], v5 offset:14336
	s_waitcnt lgkmcnt(0)
	v_lshrrev_b64 v[5:6], s48, v[5:6]
	s_delay_alu instid0(VALU_DEP_1)
	v_and_b32_e32 v30, s55, v5
	s_or_b32 exec_lo, exec_lo, s2
                                        ; implicit-def: $vgpr28
	s_and_saveexec_b32 s2, s25
	s_cbranch_execz .LBB25_137
.LBB25_240:
	v_lshlrev_b32_e32 v5, 3, v1
	ds_load_b64 v[5:6], v5 offset:16384
	s_waitcnt lgkmcnt(0)
	v_lshrrev_b64 v[5:6], s48, v[5:6]
	s_delay_alu instid0(VALU_DEP_1)
	v_and_b32_e32 v28, s55, v5
	s_or_b32 exec_lo, exec_lo, s2
                                        ; implicit-def: $vgpr27
	s_and_saveexec_b32 s2, s26
	s_cbranch_execz .LBB25_138
.LBB25_241:
	v_lshlrev_b32_e32 v5, 3, v1
	ds_load_b64 v[5:6], v5 offset:18432
	s_waitcnt lgkmcnt(0)
	v_lshrrev_b64 v[5:6], s48, v[5:6]
	s_delay_alu instid0(VALU_DEP_1)
	v_and_b32_e32 v27, s55, v5
	s_or_b32 exec_lo, exec_lo, s2
                                        ; implicit-def: $vgpr26
	s_and_saveexec_b32 s2, s27
	s_cbranch_execz .LBB25_139
.LBB25_242:
	v_lshlrev_b32_e32 v5, 3, v1
	ds_load_b64 v[5:6], v5 offset:20480
	s_waitcnt lgkmcnt(0)
	v_lshrrev_b64 v[5:6], s48, v[5:6]
	s_delay_alu instid0(VALU_DEP_1)
	v_and_b32_e32 v26, s55, v5
	s_or_b32 exec_lo, exec_lo, s2
                                        ; implicit-def: $vgpr24
	s_and_saveexec_b32 s2, s28
	s_cbranch_execz .LBB25_140
.LBB25_243:
	v_lshlrev_b32_e32 v5, 3, v1
	ds_load_b64 v[5:6], v5 offset:22528
	s_waitcnt lgkmcnt(0)
	v_lshrrev_b64 v[5:6], s48, v[5:6]
	s_delay_alu instid0(VALU_DEP_1)
	v_and_b32_e32 v24, s55, v5
	s_or_b32 exec_lo, exec_lo, s2
                                        ; implicit-def: $vgpr23
	s_and_saveexec_b32 s2, s29
	s_cbranch_execz .LBB25_141
.LBB25_244:
	v_lshlrev_b32_e32 v5, 3, v1
	ds_load_b64 v[5:6], v5 offset:24576
	s_waitcnt lgkmcnt(0)
	v_lshrrev_b64 v[5:6], s48, v[5:6]
	s_delay_alu instid0(VALU_DEP_1)
	v_and_b32_e32 v23, s55, v5
	s_or_b32 exec_lo, exec_lo, s2
                                        ; implicit-def: $vgpr21
	s_and_saveexec_b32 s2, s30
	s_cbranch_execz .LBB25_142
.LBB25_245:
	v_lshlrev_b32_e32 v5, 3, v1
	ds_load_b64 v[5:6], v5 offset:26624
	s_waitcnt lgkmcnt(0)
	v_lshrrev_b64 v[5:6], s48, v[5:6]
	s_delay_alu instid0(VALU_DEP_1)
	v_and_b32_e32 v21, s55, v5
	s_or_b32 exec_lo, exec_lo, s2
                                        ; implicit-def: $vgpr20
	s_and_saveexec_b32 s2, s31
	s_cbranch_execz .LBB25_143
.LBB25_246:
	v_lshlrev_b32_e32 v5, 3, v1
	ds_load_b64 v[5:6], v5 offset:28672
	s_waitcnt lgkmcnt(0)
	v_lshrrev_b64 v[5:6], s48, v[5:6]
	s_delay_alu instid0(VALU_DEP_1)
	v_and_b32_e32 v20, s55, v5
	s_or_b32 exec_lo, exec_lo, s2
                                        ; implicit-def: $vgpr6
	s_and_saveexec_b32 s2, s33
	s_cbranch_execz .LBB25_144
.LBB25_247:
	v_lshlrev_b32_e32 v5, 3, v1
	ds_load_b64 v[5:6], v5 offset:30720
	s_waitcnt lgkmcnt(0)
	v_lshrrev_b64 v[5:6], s48, v[5:6]
	s_delay_alu instid0(VALU_DEP_1)
	v_and_b32_e32 v6, s55, v5
	s_or_b32 exec_lo, exec_lo, s2
                                        ; implicit-def: $vgpr5
	s_and_saveexec_b32 s2, s34
	s_cbranch_execnz .LBB25_145
	s_branch .LBB25_146
.LBB25_248:
	v_lshlrev_b32_e32 v7, 3, v55
	ds_load_b64 v[11:12], v7
	ds_load_u8 v7, v1 offset:2048
	s_waitcnt lgkmcnt(1)
	v_add_co_u32 v9, vcc_lo, s42, v11
	v_add_co_ci_u32_e32 v12, vcc_lo, s43, v12, vcc_lo
	s_delay_alu instid0(VALU_DEP_2) | instskip(NEXT) | instid1(VALU_DEP_2)
	v_add_co_u32 v11, vcc_lo, v9, v1
	v_add_co_ci_u32_e32 v12, vcc_lo, 0, v12, vcc_lo
	s_waitcnt lgkmcnt(0)
	global_store_b8 v[11:12], v7, off
	s_or_b32 exec_lo, exec_lo, s2
	s_and_saveexec_b32 s2, s19
	s_cbranch_execz .LBB25_148
.LBB25_249:
	v_lshlrev_b32_e32 v7, 3, v43
	ds_load_b64 v[11:12], v7
	ds_load_u8 v7, v1 offset:2304
	s_waitcnt lgkmcnt(1)
	v_add_co_u32 v9, vcc_lo, s42, v11
	v_add_co_ci_u32_e32 v12, vcc_lo, s43, v12, vcc_lo
	s_delay_alu instid0(VALU_DEP_2) | instskip(NEXT) | instid1(VALU_DEP_2)
	v_add_co_u32 v11, vcc_lo, v9, v1
	v_add_co_ci_u32_e32 v12, vcc_lo, 0, v12, vcc_lo
	s_waitcnt lgkmcnt(0)
	global_store_b8 v[11:12], v7, off offset:256
	s_or_b32 exec_lo, exec_lo, s2
	s_and_saveexec_b32 s2, s20
	s_cbranch_execz .LBB25_149
.LBB25_250:
	v_lshlrev_b32_e32 v7, 3, v35
	ds_load_b64 v[11:12], v7
	ds_load_u8 v7, v1 offset:2560
	s_waitcnt lgkmcnt(1)
	v_add_co_u32 v9, vcc_lo, s42, v11
	v_add_co_ci_u32_e32 v12, vcc_lo, s43, v12, vcc_lo
	s_delay_alu instid0(VALU_DEP_2) | instskip(NEXT) | instid1(VALU_DEP_2)
	v_add_co_u32 v11, vcc_lo, v9, v1
	v_add_co_ci_u32_e32 v12, vcc_lo, 0, v12, vcc_lo
	s_waitcnt lgkmcnt(0)
	global_store_b8 v[11:12], v7, off offset:512
	s_or_b32 exec_lo, exec_lo, s2
	s_and_saveexec_b32 s2, s21
	s_cbranch_execz .LBB25_150
.LBB25_251:
	v_lshlrev_b32_e32 v7, 3, v34
	ds_load_b64 v[11:12], v7
	ds_load_u8 v7, v1 offset:2816
	s_waitcnt lgkmcnt(1)
	v_add_co_u32 v9, vcc_lo, s42, v11
	v_add_co_ci_u32_e32 v12, vcc_lo, s43, v12, vcc_lo
	s_delay_alu instid0(VALU_DEP_2) | instskip(NEXT) | instid1(VALU_DEP_2)
	v_add_co_u32 v11, vcc_lo, v9, v1
	v_add_co_ci_u32_e32 v12, vcc_lo, 0, v12, vcc_lo
	s_waitcnt lgkmcnt(0)
	global_store_b8 v[11:12], v7, off offset:768
	s_or_b32 exec_lo, exec_lo, s2
	s_and_saveexec_b32 s2, s22
	s_cbranch_execz .LBB25_151
.LBB25_252:
	v_lshlrev_b32_e32 v7, 3, v32
	ds_load_b64 v[11:12], v7
	ds_load_u8 v7, v1 offset:3072
	s_waitcnt lgkmcnt(1)
	v_add_co_u32 v9, vcc_lo, s42, v11
	v_add_co_ci_u32_e32 v12, vcc_lo, s43, v12, vcc_lo
	s_delay_alu instid0(VALU_DEP_2) | instskip(NEXT) | instid1(VALU_DEP_2)
	v_add_co_u32 v11, vcc_lo, v9, v1
	v_add_co_ci_u32_e32 v12, vcc_lo, 0, v12, vcc_lo
	s_waitcnt lgkmcnt(0)
	global_store_b8 v[11:12], v7, off offset:1024
	s_or_b32 exec_lo, exec_lo, s2
	s_and_saveexec_b32 s2, s23
	s_cbranch_execz .LBB25_152
.LBB25_253:
	v_lshlrev_b32_e32 v7, 3, v31
	ds_load_b64 v[11:12], v7
	ds_load_u8 v7, v1 offset:3328
	s_waitcnt lgkmcnt(1)
	v_add_co_u32 v9, vcc_lo, s42, v11
	v_add_co_ci_u32_e32 v12, vcc_lo, s43, v12, vcc_lo
	s_delay_alu instid0(VALU_DEP_2) | instskip(NEXT) | instid1(VALU_DEP_2)
	v_add_co_u32 v11, vcc_lo, v9, v1
	v_add_co_ci_u32_e32 v12, vcc_lo, 0, v12, vcc_lo
	s_waitcnt lgkmcnt(0)
	global_store_b8 v[11:12], v7, off offset:1280
	s_or_b32 exec_lo, exec_lo, s2
	s_and_saveexec_b32 s2, s24
	s_cbranch_execz .LBB25_153
.LBB25_254:
	v_lshlrev_b32_e32 v7, 3, v30
	ds_load_b64 v[11:12], v7
	ds_load_u8 v7, v1 offset:3584
	s_waitcnt lgkmcnt(1)
	v_add_co_u32 v9, vcc_lo, s42, v11
	v_add_co_ci_u32_e32 v12, vcc_lo, s43, v12, vcc_lo
	s_delay_alu instid0(VALU_DEP_2) | instskip(NEXT) | instid1(VALU_DEP_2)
	v_add_co_u32 v11, vcc_lo, v9, v1
	v_add_co_ci_u32_e32 v12, vcc_lo, 0, v12, vcc_lo
	s_waitcnt lgkmcnt(0)
	global_store_b8 v[11:12], v7, off offset:1536
	s_or_b32 exec_lo, exec_lo, s2
	s_and_saveexec_b32 s2, s25
	s_cbranch_execz .LBB25_154
.LBB25_255:
	v_lshlrev_b32_e32 v7, 3, v28
	ds_load_b64 v[11:12], v7
	ds_load_u8 v7, v1 offset:3840
	s_waitcnt lgkmcnt(1)
	v_add_co_u32 v9, vcc_lo, s42, v11
	v_add_co_ci_u32_e32 v12, vcc_lo, s43, v12, vcc_lo
	s_delay_alu instid0(VALU_DEP_2) | instskip(NEXT) | instid1(VALU_DEP_2)
	v_add_co_u32 v11, vcc_lo, v9, v1
	v_add_co_ci_u32_e32 v12, vcc_lo, 0, v12, vcc_lo
	s_waitcnt lgkmcnt(0)
	global_store_b8 v[11:12], v7, off offset:1792
	s_or_b32 exec_lo, exec_lo, s2
	s_and_saveexec_b32 s2, s26
	s_cbranch_execz .LBB25_155
.LBB25_256:
	v_lshlrev_b32_e32 v7, 3, v27
	ds_load_b64 v[11:12], v7
	ds_load_u8 v7, v1 offset:4096
	s_waitcnt lgkmcnt(1)
	v_add_co_u32 v9, vcc_lo, s42, v11
	v_add_co_ci_u32_e32 v12, vcc_lo, s43, v12, vcc_lo
	s_delay_alu instid0(VALU_DEP_2) | instskip(NEXT) | instid1(VALU_DEP_2)
	v_add_co_u32 v11, vcc_lo, v9, v1
	v_add_co_ci_u32_e32 v12, vcc_lo, 0, v12, vcc_lo
	s_waitcnt lgkmcnt(0)
	global_store_b8 v[11:12], v7, off offset:2048
	s_or_b32 exec_lo, exec_lo, s2
	s_and_saveexec_b32 s2, s27
	s_cbranch_execz .LBB25_156
.LBB25_257:
	v_lshlrev_b32_e32 v7, 3, v26
	ds_load_b64 v[11:12], v7
	ds_load_u8 v7, v1 offset:4352
	s_waitcnt lgkmcnt(1)
	v_add_co_u32 v9, vcc_lo, s42, v11
	v_add_co_ci_u32_e32 v12, vcc_lo, s43, v12, vcc_lo
	s_delay_alu instid0(VALU_DEP_2) | instskip(NEXT) | instid1(VALU_DEP_2)
	v_add_co_u32 v11, vcc_lo, v9, v1
	v_add_co_ci_u32_e32 v12, vcc_lo, 0, v12, vcc_lo
	s_waitcnt lgkmcnt(0)
	global_store_b8 v[11:12], v7, off offset:2304
	s_or_b32 exec_lo, exec_lo, s2
	s_and_saveexec_b32 s2, s28
	s_cbranch_execz .LBB25_157
.LBB25_258:
	v_lshlrev_b32_e32 v7, 3, v24
	ds_load_b64 v[11:12], v7
	ds_load_u8 v7, v1 offset:4608
	s_waitcnt lgkmcnt(1)
	v_add_co_u32 v9, vcc_lo, s42, v11
	v_add_co_ci_u32_e32 v12, vcc_lo, s43, v12, vcc_lo
	s_delay_alu instid0(VALU_DEP_2) | instskip(NEXT) | instid1(VALU_DEP_2)
	v_add_co_u32 v11, vcc_lo, v9, v1
	v_add_co_ci_u32_e32 v12, vcc_lo, 0, v12, vcc_lo
	s_waitcnt lgkmcnt(0)
	global_store_b8 v[11:12], v7, off offset:2560
	s_or_b32 exec_lo, exec_lo, s2
	s_and_saveexec_b32 s2, s29
	s_cbranch_execz .LBB25_158
.LBB25_259:
	v_lshlrev_b32_e32 v7, 3, v23
	ds_load_b64 v[11:12], v7
	ds_load_u8 v7, v1 offset:4864
	s_waitcnt lgkmcnt(1)
	v_add_co_u32 v9, vcc_lo, s42, v11
	v_add_co_ci_u32_e32 v12, vcc_lo, s43, v12, vcc_lo
	s_delay_alu instid0(VALU_DEP_2) | instskip(NEXT) | instid1(VALU_DEP_2)
	v_add_co_u32 v11, vcc_lo, v9, v1
	v_add_co_ci_u32_e32 v12, vcc_lo, 0, v12, vcc_lo
	s_waitcnt lgkmcnt(0)
	global_store_b8 v[11:12], v7, off offset:2816
	s_or_b32 exec_lo, exec_lo, s2
	s_and_saveexec_b32 s2, s30
	s_cbranch_execz .LBB25_159
.LBB25_260:
	v_lshlrev_b32_e32 v7, 3, v21
	ds_load_b64 v[11:12], v7
	ds_load_u8 v7, v1 offset:5120
	s_waitcnt lgkmcnt(1)
	v_add_co_u32 v9, vcc_lo, s42, v11
	v_add_co_ci_u32_e32 v12, vcc_lo, s43, v12, vcc_lo
	s_delay_alu instid0(VALU_DEP_2) | instskip(NEXT) | instid1(VALU_DEP_2)
	v_add_co_u32 v11, vcc_lo, v9, v1
	v_add_co_ci_u32_e32 v12, vcc_lo, 0, v12, vcc_lo
	s_waitcnt lgkmcnt(0)
	global_store_b8 v[11:12], v7, off offset:3072
	s_or_b32 exec_lo, exec_lo, s2
	s_and_saveexec_b32 s2, s31
	s_cbranch_execz .LBB25_160
.LBB25_261:
	v_lshlrev_b32_e32 v7, 3, v20
	ds_load_b64 v[11:12], v7
	ds_load_u8 v7, v1 offset:5376
	s_waitcnt lgkmcnt(1)
	v_add_co_u32 v9, vcc_lo, s42, v11
	v_add_co_ci_u32_e32 v12, vcc_lo, s43, v12, vcc_lo
	s_delay_alu instid0(VALU_DEP_2) | instskip(NEXT) | instid1(VALU_DEP_2)
	v_add_co_u32 v11, vcc_lo, v9, v1
	v_add_co_ci_u32_e32 v12, vcc_lo, 0, v12, vcc_lo
	s_waitcnt lgkmcnt(0)
	global_store_b8 v[11:12], v7, off offset:3328
	s_or_b32 exec_lo, exec_lo, s2
	s_and_saveexec_b32 s2, s33
	s_cbranch_execz .LBB25_161
.LBB25_262:
	v_lshlrev_b32_e32 v6, 3, v6
	ds_load_b64 v[6:7], v6
	ds_load_u8 v9, v1 offset:5632
	s_waitcnt lgkmcnt(1)
	v_add_co_u32 v6, vcc_lo, s42, v6
	v_add_co_ci_u32_e32 v7, vcc_lo, s43, v7, vcc_lo
	s_delay_alu instid0(VALU_DEP_2) | instskip(NEXT) | instid1(VALU_DEP_2)
	v_add_co_u32 v6, vcc_lo, v6, v1
	v_add_co_ci_u32_e32 v7, vcc_lo, 0, v7, vcc_lo
	s_waitcnt lgkmcnt(0)
	global_store_b8 v[6:7], v9, off offset:3584
	s_or_b32 exec_lo, exec_lo, s2
	s_and_saveexec_b32 s2, s34
	s_cbranch_execnz .LBB25_162
	s_branch .LBB25_163
	.section	.rodata,"a",@progbits
	.p2align	6, 0x0
	.amdhsa_kernel _ZN7rocprim17ROCPRIM_304000_NS6detail25onesweep_iteration_kernelINS1_34wrapped_radix_sort_onesweep_configINS0_14default_configElN2at4cuda3cub6detail10OpaqueTypeILi1EEEEELb0EPlSC_PSA_SD_mNS0_19identity_decomposerEEEvT1_T2_T3_T4_jPT5_SK_PNS1_23onesweep_lookback_stateET6_jjj
		.amdhsa_group_segment_fixed_size 34816
		.amdhsa_private_segment_fixed_size 0
		.amdhsa_kernarg_size 336
		.amdhsa_user_sgpr_count 15
		.amdhsa_user_sgpr_dispatch_ptr 0
		.amdhsa_user_sgpr_queue_ptr 0
		.amdhsa_user_sgpr_kernarg_segment_ptr 1
		.amdhsa_user_sgpr_dispatch_id 0
		.amdhsa_user_sgpr_private_segment_size 0
		.amdhsa_wavefront_size32 1
		.amdhsa_uses_dynamic_stack 0
		.amdhsa_enable_private_segment 0
		.amdhsa_system_sgpr_workgroup_id_x 1
		.amdhsa_system_sgpr_workgroup_id_y 0
		.amdhsa_system_sgpr_workgroup_id_z 0
		.amdhsa_system_sgpr_workgroup_info 0
		.amdhsa_system_vgpr_workitem_id 2
		.amdhsa_next_free_vgpr 116
		.amdhsa_next_free_sgpr 57
		.amdhsa_reserve_vcc 1
		.amdhsa_float_round_mode_32 0
		.amdhsa_float_round_mode_16_64 0
		.amdhsa_float_denorm_mode_32 3
		.amdhsa_float_denorm_mode_16_64 3
		.amdhsa_dx10_clamp 1
		.amdhsa_ieee_mode 1
		.amdhsa_fp16_overflow 0
		.amdhsa_workgroup_processor_mode 1
		.amdhsa_memory_ordered 1
		.amdhsa_forward_progress 0
		.amdhsa_shared_vgpr_count 0
		.amdhsa_exception_fp_ieee_invalid_op 0
		.amdhsa_exception_fp_denorm_src 0
		.amdhsa_exception_fp_ieee_div_zero 0
		.amdhsa_exception_fp_ieee_overflow 0
		.amdhsa_exception_fp_ieee_underflow 0
		.amdhsa_exception_fp_ieee_inexact 0
		.amdhsa_exception_int_div_zero 0
	.end_amdhsa_kernel
	.section	.text._ZN7rocprim17ROCPRIM_304000_NS6detail25onesweep_iteration_kernelINS1_34wrapped_radix_sort_onesweep_configINS0_14default_configElN2at4cuda3cub6detail10OpaqueTypeILi1EEEEELb0EPlSC_PSA_SD_mNS0_19identity_decomposerEEEvT1_T2_T3_T4_jPT5_SK_PNS1_23onesweep_lookback_stateET6_jjj,"axG",@progbits,_ZN7rocprim17ROCPRIM_304000_NS6detail25onesweep_iteration_kernelINS1_34wrapped_radix_sort_onesweep_configINS0_14default_configElN2at4cuda3cub6detail10OpaqueTypeILi1EEEEELb0EPlSC_PSA_SD_mNS0_19identity_decomposerEEEvT1_T2_T3_T4_jPT5_SK_PNS1_23onesweep_lookback_stateET6_jjj,comdat
.Lfunc_end25:
	.size	_ZN7rocprim17ROCPRIM_304000_NS6detail25onesweep_iteration_kernelINS1_34wrapped_radix_sort_onesweep_configINS0_14default_configElN2at4cuda3cub6detail10OpaqueTypeILi1EEEEELb0EPlSC_PSA_SD_mNS0_19identity_decomposerEEEvT1_T2_T3_T4_jPT5_SK_PNS1_23onesweep_lookback_stateET6_jjj, .Lfunc_end25-_ZN7rocprim17ROCPRIM_304000_NS6detail25onesweep_iteration_kernelINS1_34wrapped_radix_sort_onesweep_configINS0_14default_configElN2at4cuda3cub6detail10OpaqueTypeILi1EEEEELb0EPlSC_PSA_SD_mNS0_19identity_decomposerEEEvT1_T2_T3_T4_jPT5_SK_PNS1_23onesweep_lookback_stateET6_jjj
                                        ; -- End function
	.section	.AMDGPU.csdata,"",@progbits
; Kernel info:
; codeLenInByte = 24128
; NumSgprs: 59
; NumVgprs: 116
; ScratchSize: 0
; MemoryBound: 0
; FloatMode: 240
; IeeeMode: 1
; LDSByteSize: 34816 bytes/workgroup (compile time only)
; SGPRBlocks: 7
; VGPRBlocks: 14
; NumSGPRsForWavesPerEU: 59
; NumVGPRsForWavesPerEU: 116
; Occupancy: 6
; WaveLimiterHint : 1
; COMPUTE_PGM_RSRC2:SCRATCH_EN: 0
; COMPUTE_PGM_RSRC2:USER_SGPR: 15
; COMPUTE_PGM_RSRC2:TRAP_HANDLER: 0
; COMPUTE_PGM_RSRC2:TGID_X_EN: 1
; COMPUTE_PGM_RSRC2:TGID_Y_EN: 0
; COMPUTE_PGM_RSRC2:TGID_Z_EN: 0
; COMPUTE_PGM_RSRC2:TIDIG_COMP_CNT: 2
	.text
	.p2alignl 7, 3214868480
	.fill 96, 4, 3214868480
	.type	__hip_cuid_aa3d3dd4ca9b7aa0,@object ; @__hip_cuid_aa3d3dd4ca9b7aa0
	.section	.bss,"aw",@nobits
	.globl	__hip_cuid_aa3d3dd4ca9b7aa0
__hip_cuid_aa3d3dd4ca9b7aa0:
	.byte	0                               ; 0x0
	.size	__hip_cuid_aa3d3dd4ca9b7aa0, 1

	.ident	"AMD clang version 19.0.0git (https://github.com/RadeonOpenCompute/llvm-project roc-6.4.0 25133 c7fe45cf4b819c5991fe208aaa96edf142730f1d)"
	.section	".note.GNU-stack","",@progbits
	.addrsig
	.addrsig_sym __hip_cuid_aa3d3dd4ca9b7aa0
	.amdgpu_metadata
---
amdhsa.kernels:
  - .args:
      - .address_space:  global
        .offset:         0
        .size:           8
        .value_kind:     global_buffer
      - .address_space:  global
        .offset:         8
        .size:           8
        .value_kind:     global_buffer
      - .address_space:  global
        .offset:         16
        .size:           8
        .value_kind:     global_buffer
      - .address_space:  global
        .offset:         24
        .size:           8
        .value_kind:     global_buffer
      - .offset:         32
        .size:           4
        .value_kind:     by_value
      - .offset:         36
        .size:           1
        .value_kind:     by_value
      - .offset:         40
        .size:           4
        .value_kind:     by_value
      - .offset:         44
        .size:           4
        .value_kind:     by_value
      - .offset:         48
        .size:           4
        .value_kind:     hidden_block_count_x
      - .offset:         52
        .size:           4
        .value_kind:     hidden_block_count_y
      - .offset:         56
        .size:           4
        .value_kind:     hidden_block_count_z
      - .offset:         60
        .size:           2
        .value_kind:     hidden_group_size_x
      - .offset:         62
        .size:           2
        .value_kind:     hidden_group_size_y
      - .offset:         64
        .size:           2
        .value_kind:     hidden_group_size_z
      - .offset:         66
        .size:           2
        .value_kind:     hidden_remainder_x
      - .offset:         68
        .size:           2
        .value_kind:     hidden_remainder_y
      - .offset:         70
        .size:           2
        .value_kind:     hidden_remainder_z
      - .offset:         88
        .size:           8
        .value_kind:     hidden_global_offset_x
      - .offset:         96
        .size:           8
        .value_kind:     hidden_global_offset_y
      - .offset:         104
        .size:           8
        .value_kind:     hidden_global_offset_z
      - .offset:         112
        .size:           2
        .value_kind:     hidden_grid_dims
    .group_segment_fixed_size: 8224
    .kernarg_segment_align: 8
    .kernarg_segment_size: 304
    .language:       OpenCL C
    .language_version:
      - 2
      - 0
    .max_flat_workgroup_size: 256
    .name:           _ZN7rocprim17ROCPRIM_304000_NS6detail28radix_sort_block_sort_kernelINS1_36wrapped_radix_sort_block_sort_configINS0_13kernel_configILj256ELj4ELj4294967295EEElN2at4cuda3cub6detail10OpaqueTypeILi1EEEEELb1EPKlPlPKSB_PSB_NS0_19identity_decomposerEEEvT1_T2_T3_T4_jT5_jj
    .private_segment_fixed_size: 0
    .sgpr_count:     34
    .sgpr_spill_count: 0
    .symbol:         _ZN7rocprim17ROCPRIM_304000_NS6detail28radix_sort_block_sort_kernelINS1_36wrapped_radix_sort_block_sort_configINS0_13kernel_configILj256ELj4ELj4294967295EEElN2at4cuda3cub6detail10OpaqueTypeILi1EEEEELb1EPKlPlPKSB_PSB_NS0_19identity_decomposerEEEvT1_T2_T3_T4_jT5_jj.kd
    .uniform_work_group_size: 1
    .uses_dynamic_stack: false
    .vgpr_count:     53
    .vgpr_spill_count: 0
    .wavefront_size: 32
    .workgroup_processor_mode: 1
  - .args:           []
    .group_segment_fixed_size: 0
    .kernarg_segment_align: 4
    .kernarg_segment_size: 0
    .language:       OpenCL C
    .language_version:
      - 2
      - 0
    .max_flat_workgroup_size: 1024
    .name:           _ZN7rocprim17ROCPRIM_304000_NS6detail39device_merge_sort_compile_time_verifierINS1_36wrapped_merge_sort_block_sort_configINS1_28merge_sort_block_sort_configILj256ELj4ELNS0_20block_sort_algorithmE0EEElN2at4cuda3cub6detail10OpaqueTypeILi1EEEEENS1_37wrapped_merge_sort_block_merge_configINS0_14default_configElSC_EEEEvv
    .private_segment_fixed_size: 0
    .sgpr_count:     0
    .sgpr_spill_count: 0
    .symbol:         _ZN7rocprim17ROCPRIM_304000_NS6detail39device_merge_sort_compile_time_verifierINS1_36wrapped_merge_sort_block_sort_configINS1_28merge_sort_block_sort_configILj256ELj4ELNS0_20block_sort_algorithmE0EEElN2at4cuda3cub6detail10OpaqueTypeILi1EEEEENS1_37wrapped_merge_sort_block_merge_configINS0_14default_configElSC_EEEEvv.kd
    .uniform_work_group_size: 1
    .uses_dynamic_stack: false
    .vgpr_count:     0
    .vgpr_spill_count: 0
    .wavefront_size: 32
    .workgroup_processor_mode: 1
  - .args:
      - .address_space:  global
        .offset:         0
        .size:           8
        .value_kind:     global_buffer
      - .offset:         8
        .size:           4
        .value_kind:     by_value
      - .offset:         12
        .size:           4
        .value_kind:     by_value
      - .address_space:  global
        .offset:         16
        .size:           8
        .value_kind:     global_buffer
      - .offset:         24
        .size:           1
        .value_kind:     by_value
      - .offset:         28
        .size:           4
        .value_kind:     by_value
    .group_segment_fixed_size: 0
    .kernarg_segment_align: 8
    .kernarg_segment_size: 32
    .language:       OpenCL C
    .language_version:
      - 2
      - 0
    .max_flat_workgroup_size: 128
    .name:           _ZN7rocprim17ROCPRIM_304000_NS6detail45device_block_merge_mergepath_partition_kernelINS1_37wrapped_merge_sort_block_merge_configINS0_14default_configElN2at4cuda3cub6detail10OpaqueTypeILi1EEEEEPljNS1_19radix_merge_compareILb1ELb0ElNS0_19identity_decomposerEEEEEvT0_T1_jPSH_T2_SH_
    .private_segment_fixed_size: 0
    .sgpr_count:     18
    .sgpr_spill_count: 0
    .symbol:         _ZN7rocprim17ROCPRIM_304000_NS6detail45device_block_merge_mergepath_partition_kernelINS1_37wrapped_merge_sort_block_merge_configINS0_14default_configElN2at4cuda3cub6detail10OpaqueTypeILi1EEEEEPljNS1_19radix_merge_compareILb1ELb0ElNS0_19identity_decomposerEEEEEvT0_T1_jPSH_T2_SH_.kd
    .uniform_work_group_size: 1
    .uses_dynamic_stack: false
    .vgpr_count:     15
    .vgpr_spill_count: 0
    .wavefront_size: 32
    .workgroup_processor_mode: 1
  - .args:
      - .address_space:  global
        .offset:         0
        .size:           8
        .value_kind:     global_buffer
      - .address_space:  global
        .offset:         8
        .size:           8
        .value_kind:     global_buffer
      - .address_space:  global
        .offset:         16
        .size:           8
        .value_kind:     global_buffer
      - .address_space:  global
        .offset:         24
        .size:           8
        .value_kind:     global_buffer
      - .offset:         32
        .size:           4
        .value_kind:     by_value
      - .offset:         36
        .size:           4
        .value_kind:     by_value
      - .offset:         40
        .size:           4
        .value_kind:     by_value
      - .offset:         44
        .size:           1
        .value_kind:     by_value
      - .address_space:  global
        .offset:         48
        .size:           8
        .value_kind:     global_buffer
      - .address_space:  global
        .offset:         56
        .size:           8
        .value_kind:     global_buffer
      - .offset:         64
        .size:           4
        .value_kind:     hidden_block_count_x
      - .offset:         68
        .size:           4
        .value_kind:     hidden_block_count_y
      - .offset:         72
        .size:           4
        .value_kind:     hidden_block_count_z
      - .offset:         76
        .size:           2
        .value_kind:     hidden_group_size_x
      - .offset:         78
        .size:           2
        .value_kind:     hidden_group_size_y
      - .offset:         80
        .size:           2
        .value_kind:     hidden_group_size_z
      - .offset:         82
        .size:           2
        .value_kind:     hidden_remainder_x
      - .offset:         84
        .size:           2
        .value_kind:     hidden_remainder_y
      - .offset:         86
        .size:           2
        .value_kind:     hidden_remainder_z
      - .offset:         104
        .size:           8
        .value_kind:     hidden_global_offset_x
      - .offset:         112
        .size:           8
        .value_kind:     hidden_global_offset_y
      - .offset:         120
        .size:           8
        .value_kind:     hidden_global_offset_z
      - .offset:         128
        .size:           2
        .value_kind:     hidden_grid_dims
    .group_segment_fixed_size: 8448
    .kernarg_segment_align: 8
    .kernarg_segment_size: 320
    .language:       OpenCL C
    .language_version:
      - 2
      - 0
    .max_flat_workgroup_size: 512
    .name:           _ZN7rocprim17ROCPRIM_304000_NS6detail35device_block_merge_mergepath_kernelINS1_37wrapped_merge_sort_block_merge_configINS0_14default_configElN2at4cuda3cub6detail10OpaqueTypeILi1EEEEEPlSC_PSA_SD_jNS1_19radix_merge_compareILb1ELb0ElNS0_19identity_decomposerEEEEEvT0_T1_T2_T3_T4_SL_jT5_PKSL_NS1_7vsmem_tE
    .private_segment_fixed_size: 0
    .sgpr_count:     32
    .sgpr_spill_count: 0
    .symbol:         _ZN7rocprim17ROCPRIM_304000_NS6detail35device_block_merge_mergepath_kernelINS1_37wrapped_merge_sort_block_merge_configINS0_14default_configElN2at4cuda3cub6detail10OpaqueTypeILi1EEEEEPlSC_PSA_SD_jNS1_19radix_merge_compareILb1ELb0ElNS0_19identity_decomposerEEEEEvT0_T1_T2_T3_T4_SL_jT5_PKSL_NS1_7vsmem_tE.kd
    .uniform_work_group_size: 1
    .uses_dynamic_stack: false
    .vgpr_count:     16
    .vgpr_spill_count: 0
    .wavefront_size: 32
    .workgroup_processor_mode: 1
  - .args:
      - .address_space:  global
        .offset:         0
        .size:           8
        .value_kind:     global_buffer
      - .address_space:  global
        .offset:         8
        .size:           8
        .value_kind:     global_buffer
      - .address_space:  global
        .offset:         16
        .size:           8
        .value_kind:     global_buffer
      - .address_space:  global
        .offset:         24
        .size:           8
        .value_kind:     global_buffer
      - .offset:         32
        .size:           4
        .value_kind:     by_value
      - .offset:         36
        .size:           4
        .value_kind:     by_value
      - .offset:         40
        .size:           1
        .value_kind:     by_value
    .group_segment_fixed_size: 0
    .kernarg_segment_align: 8
    .kernarg_segment_size: 44
    .language:       OpenCL C
    .language_version:
      - 2
      - 0
    .max_flat_workgroup_size: 256
    .name:           _ZN7rocprim17ROCPRIM_304000_NS6detail33device_block_merge_oddeven_kernelINS1_37wrapped_merge_sort_block_merge_configINS0_14default_configElN2at4cuda3cub6detail10OpaqueTypeILi1EEEEEPlSC_PSA_SD_jNS1_19radix_merge_compareILb1ELb0ElNS0_19identity_decomposerEEEEEvT0_T1_T2_T3_T4_SL_T5_
    .private_segment_fixed_size: 0
    .sgpr_count:     20
    .sgpr_spill_count: 0
    .symbol:         _ZN7rocprim17ROCPRIM_304000_NS6detail33device_block_merge_oddeven_kernelINS1_37wrapped_merge_sort_block_merge_configINS0_14default_configElN2at4cuda3cub6detail10OpaqueTypeILi1EEEEEPlSC_PSA_SD_jNS1_19radix_merge_compareILb1ELb0ElNS0_19identity_decomposerEEEEEvT0_T1_T2_T3_T4_SL_T5_.kd
    .uniform_work_group_size: 1
    .uses_dynamic_stack: false
    .vgpr_count:     11
    .vgpr_spill_count: 0
    .wavefront_size: 32
    .workgroup_processor_mode: 1
  - .args:
      - .address_space:  global
        .offset:         0
        .size:           8
        .value_kind:     global_buffer
      - .offset:         8
        .size:           8
        .value_kind:     by_value
      - .address_space:  global
        .offset:         16
        .size:           8
        .value_kind:     global_buffer
      - .offset:         24
        .size:           1
        .value_kind:     by_value
      - .offset:         32
        .size:           4
        .value_kind:     hidden_block_count_x
      - .offset:         36
        .size:           4
        .value_kind:     hidden_block_count_y
      - .offset:         40
        .size:           4
        .value_kind:     hidden_block_count_z
      - .offset:         44
        .size:           2
        .value_kind:     hidden_group_size_x
      - .offset:         46
        .size:           2
        .value_kind:     hidden_group_size_y
      - .offset:         48
        .size:           2
        .value_kind:     hidden_group_size_z
      - .offset:         50
        .size:           2
        .value_kind:     hidden_remainder_x
      - .offset:         52
        .size:           2
        .value_kind:     hidden_remainder_y
      - .offset:         54
        .size:           2
        .value_kind:     hidden_remainder_z
      - .offset:         72
        .size:           8
        .value_kind:     hidden_global_offset_x
      - .offset:         80
        .size:           8
        .value_kind:     hidden_global_offset_y
      - .offset:         88
        .size:           8
        .value_kind:     hidden_global_offset_z
      - .offset:         96
        .size:           2
        .value_kind:     hidden_grid_dims
    .group_segment_fixed_size: 0
    .kernarg_segment_align: 8
    .kernarg_segment_size: 288
    .language:       OpenCL C
    .language_version:
      - 2
      - 0
    .max_flat_workgroup_size: 512
    .name:           _ZN7rocprim17ROCPRIM_304000_NS6detail16transform_kernelINS1_24wrapped_transform_configINS0_14default_configElEElPlS6_NS0_8identityIlEEEEvT1_mT2_T3_
    .private_segment_fixed_size: 0
    .sgpr_count:     18
    .sgpr_spill_count: 0
    .symbol:         _ZN7rocprim17ROCPRIM_304000_NS6detail16transform_kernelINS1_24wrapped_transform_configINS0_14default_configElEElPlS6_NS0_8identityIlEEEEvT1_mT2_T3_.kd
    .uniform_work_group_size: 1
    .uses_dynamic_stack: false
    .vgpr_count:     5
    .vgpr_spill_count: 0
    .wavefront_size: 32
    .workgroup_processor_mode: 1
  - .args:
      - .address_space:  global
        .offset:         0
        .size:           8
        .value_kind:     global_buffer
      - .offset:         8
        .size:           8
        .value_kind:     by_value
      - .address_space:  global
        .offset:         16
        .size:           8
        .value_kind:     global_buffer
      - .offset:         24
        .size:           1
        .value_kind:     by_value
      - .offset:         32
        .size:           4
        .value_kind:     hidden_block_count_x
      - .offset:         36
        .size:           4
        .value_kind:     hidden_block_count_y
      - .offset:         40
        .size:           4
        .value_kind:     hidden_block_count_z
      - .offset:         44
        .size:           2
        .value_kind:     hidden_group_size_x
      - .offset:         46
        .size:           2
        .value_kind:     hidden_group_size_y
      - .offset:         48
        .size:           2
        .value_kind:     hidden_group_size_z
      - .offset:         50
        .size:           2
        .value_kind:     hidden_remainder_x
      - .offset:         52
        .size:           2
        .value_kind:     hidden_remainder_y
      - .offset:         54
        .size:           2
        .value_kind:     hidden_remainder_z
      - .offset:         72
        .size:           8
        .value_kind:     hidden_global_offset_x
      - .offset:         80
        .size:           8
        .value_kind:     hidden_global_offset_y
      - .offset:         88
        .size:           8
        .value_kind:     hidden_global_offset_z
      - .offset:         96
        .size:           2
        .value_kind:     hidden_grid_dims
    .group_segment_fixed_size: 0
    .kernarg_segment_align: 8
    .kernarg_segment_size: 288
    .language:       OpenCL C
    .language_version:
      - 2
      - 0
    .max_flat_workgroup_size: 1024
    .name:           _ZN7rocprim17ROCPRIM_304000_NS6detail16transform_kernelINS1_24wrapped_transform_configINS0_14default_configEN2at4cuda3cub6detail10OpaqueTypeILi1EEEEESA_PSA_SC_NS0_8identityISA_EEEEvT1_mT2_T3_
    .private_segment_fixed_size: 0
    .sgpr_count:     18
    .sgpr_spill_count: 0
    .symbol:         _ZN7rocprim17ROCPRIM_304000_NS6detail16transform_kernelINS1_24wrapped_transform_configINS0_14default_configEN2at4cuda3cub6detail10OpaqueTypeILi1EEEEESA_PSA_SC_NS0_8identityISA_EEEEvT1_mT2_T3_.kd
    .uniform_work_group_size: 1
    .uses_dynamic_stack: false
    .vgpr_count:     9
    .vgpr_spill_count: 0
    .wavefront_size: 32
    .workgroup_processor_mode: 1
  - .args:
      - .address_space:  global
        .offset:         0
        .size:           8
        .value_kind:     global_buffer
      - .offset:         8
        .size:           4
        .value_kind:     by_value
      - .offset:         12
        .size:           4
        .value_kind:     by_value
      - .address_space:  global
        .offset:         16
        .size:           8
        .value_kind:     global_buffer
      - .offset:         24
        .size:           8
        .value_kind:     by_value
      - .offset:         32
        .size:           4
        .value_kind:     by_value
    .group_segment_fixed_size: 0
    .kernarg_segment_align: 8
    .kernarg_segment_size: 36
    .language:       OpenCL C
    .language_version:
      - 2
      - 0
    .max_flat_workgroup_size: 128
    .name:           _ZN7rocprim17ROCPRIM_304000_NS6detail45device_block_merge_mergepath_partition_kernelINS1_37wrapped_merge_sort_block_merge_configINS0_14default_configElN2at4cuda3cub6detail10OpaqueTypeILi1EEEEEPljNS1_19radix_merge_compareILb1ELb1ElNS0_19identity_decomposerEEEEEvT0_T1_jPSH_T2_SH_
    .private_segment_fixed_size: 0
    .sgpr_count:     18
    .sgpr_spill_count: 0
    .symbol:         _ZN7rocprim17ROCPRIM_304000_NS6detail45device_block_merge_mergepath_partition_kernelINS1_37wrapped_merge_sort_block_merge_configINS0_14default_configElN2at4cuda3cub6detail10OpaqueTypeILi1EEEEEPljNS1_19radix_merge_compareILb1ELb1ElNS0_19identity_decomposerEEEEEvT0_T1_jPSH_T2_SH_.kd
    .uniform_work_group_size: 1
    .uses_dynamic_stack: false
    .vgpr_count:     15
    .vgpr_spill_count: 0
    .wavefront_size: 32
    .workgroup_processor_mode: 1
  - .args:
      - .address_space:  global
        .offset:         0
        .size:           8
        .value_kind:     global_buffer
      - .address_space:  global
        .offset:         8
        .size:           8
        .value_kind:     global_buffer
      - .address_space:  global
        .offset:         16
        .size:           8
        .value_kind:     global_buffer
      - .address_space:  global
        .offset:         24
        .size:           8
        .value_kind:     global_buffer
      - .offset:         32
        .size:           4
        .value_kind:     by_value
      - .offset:         36
        .size:           4
        .value_kind:     by_value
      - .offset:         40
        .size:           4
        .value_kind:     by_value
      - .offset:         48
        .size:           8
        .value_kind:     by_value
      - .address_space:  global
        .offset:         56
        .size:           8
        .value_kind:     global_buffer
      - .address_space:  global
        .offset:         64
        .size:           8
        .value_kind:     global_buffer
      - .offset:         72
        .size:           4
        .value_kind:     hidden_block_count_x
      - .offset:         76
        .size:           4
        .value_kind:     hidden_block_count_y
      - .offset:         80
        .size:           4
        .value_kind:     hidden_block_count_z
      - .offset:         84
        .size:           2
        .value_kind:     hidden_group_size_x
      - .offset:         86
        .size:           2
        .value_kind:     hidden_group_size_y
      - .offset:         88
        .size:           2
        .value_kind:     hidden_group_size_z
      - .offset:         90
        .size:           2
        .value_kind:     hidden_remainder_x
      - .offset:         92
        .size:           2
        .value_kind:     hidden_remainder_y
      - .offset:         94
        .size:           2
        .value_kind:     hidden_remainder_z
      - .offset:         112
        .size:           8
        .value_kind:     hidden_global_offset_x
      - .offset:         120
        .size:           8
        .value_kind:     hidden_global_offset_y
      - .offset:         128
        .size:           8
        .value_kind:     hidden_global_offset_z
      - .offset:         136
        .size:           2
        .value_kind:     hidden_grid_dims
    .group_segment_fixed_size: 8448
    .kernarg_segment_align: 8
    .kernarg_segment_size: 328
    .language:       OpenCL C
    .language_version:
      - 2
      - 0
    .max_flat_workgroup_size: 512
    .name:           _ZN7rocprim17ROCPRIM_304000_NS6detail35device_block_merge_mergepath_kernelINS1_37wrapped_merge_sort_block_merge_configINS0_14default_configElN2at4cuda3cub6detail10OpaqueTypeILi1EEEEEPlSC_PSA_SD_jNS1_19radix_merge_compareILb1ELb1ElNS0_19identity_decomposerEEEEEvT0_T1_T2_T3_T4_SL_jT5_PKSL_NS1_7vsmem_tE
    .private_segment_fixed_size: 0
    .sgpr_count:     34
    .sgpr_spill_count: 0
    .symbol:         _ZN7rocprim17ROCPRIM_304000_NS6detail35device_block_merge_mergepath_kernelINS1_37wrapped_merge_sort_block_merge_configINS0_14default_configElN2at4cuda3cub6detail10OpaqueTypeILi1EEEEEPlSC_PSA_SD_jNS1_19radix_merge_compareILb1ELb1ElNS0_19identity_decomposerEEEEEvT0_T1_T2_T3_T4_SL_jT5_PKSL_NS1_7vsmem_tE.kd
    .uniform_work_group_size: 1
    .uses_dynamic_stack: false
    .vgpr_count:     19
    .vgpr_spill_count: 0
    .wavefront_size: 32
    .workgroup_processor_mode: 1
  - .args:
      - .address_space:  global
        .offset:         0
        .size:           8
        .value_kind:     global_buffer
      - .address_space:  global
        .offset:         8
        .size:           8
        .value_kind:     global_buffer
      - .address_space:  global
        .offset:         16
        .size:           8
        .value_kind:     global_buffer
      - .address_space:  global
        .offset:         24
        .size:           8
        .value_kind:     global_buffer
      - .offset:         32
        .size:           4
        .value_kind:     by_value
      - .offset:         36
        .size:           4
        .value_kind:     by_value
      - .offset:         40
        .size:           8
        .value_kind:     by_value
    .group_segment_fixed_size: 0
    .kernarg_segment_align: 8
    .kernarg_segment_size: 48
    .language:       OpenCL C
    .language_version:
      - 2
      - 0
    .max_flat_workgroup_size: 256
    .name:           _ZN7rocprim17ROCPRIM_304000_NS6detail33device_block_merge_oddeven_kernelINS1_37wrapped_merge_sort_block_merge_configINS0_14default_configElN2at4cuda3cub6detail10OpaqueTypeILi1EEEEEPlSC_PSA_SD_jNS1_19radix_merge_compareILb1ELb1ElNS0_19identity_decomposerEEEEEvT0_T1_T2_T3_T4_SL_T5_
    .private_segment_fixed_size: 0
    .sgpr_count:     22
    .sgpr_spill_count: 0
    .symbol:         _ZN7rocprim17ROCPRIM_304000_NS6detail33device_block_merge_oddeven_kernelINS1_37wrapped_merge_sort_block_merge_configINS0_14default_configElN2at4cuda3cub6detail10OpaqueTypeILi1EEEEEPlSC_PSA_SD_jNS1_19radix_merge_compareILb1ELb1ElNS0_19identity_decomposerEEEEEvT0_T1_T2_T3_T4_SL_T5_.kd
    .uniform_work_group_size: 1
    .uses_dynamic_stack: false
    .vgpr_count:     13
    .vgpr_spill_count: 0
    .wavefront_size: 32
    .workgroup_processor_mode: 1
  - .args:
      - .address_space:  global
        .offset:         0
        .size:           8
        .value_kind:     global_buffer
      - .address_space:  global
        .offset:         8
        .size:           8
        .value_kind:     global_buffer
      - .offset:         16
        .size:           8
        .value_kind:     by_value
      - .offset:         24
        .size:           8
        .value_kind:     by_value
      - .offset:         32
        .size:           1
        .value_kind:     by_value
      - .offset:         36
        .size:           4
        .value_kind:     by_value
      - .offset:         40
        .size:           4
        .value_kind:     by_value
    .group_segment_fixed_size: 32768
    .kernarg_segment_align: 8
    .kernarg_segment_size: 44
    .language:       OpenCL C
    .language_version:
      - 2
      - 0
    .max_flat_workgroup_size: 256
    .name:           _ZN7rocprim17ROCPRIM_304000_NS6detail26onesweep_histograms_kernelINS1_34wrapped_radix_sort_onesweep_configINS0_14default_configElN2at4cuda3cub6detail10OpaqueTypeILi1EEEEELb1EPKlmNS0_19identity_decomposerEEEvT1_PT2_SG_SG_T3_jj
    .private_segment_fixed_size: 0
    .sgpr_count:     29
    .sgpr_spill_count: 0
    .symbol:         _ZN7rocprim17ROCPRIM_304000_NS6detail26onesweep_histograms_kernelINS1_34wrapped_radix_sort_onesweep_configINS0_14default_configElN2at4cuda3cub6detail10OpaqueTypeILi1EEEEELb1EPKlmNS0_19identity_decomposerEEEvT1_PT2_SG_SG_T3_jj.kd
    .uniform_work_group_size: 1
    .uses_dynamic_stack: false
    .vgpr_count:     46
    .vgpr_spill_count: 0
    .wavefront_size: 32
    .workgroup_processor_mode: 1
  - .args:
      - .address_space:  global
        .offset:         0
        .size:           8
        .value_kind:     global_buffer
    .group_segment_fixed_size: 64
    .kernarg_segment_align: 8
    .kernarg_segment_size: 8
    .language:       OpenCL C
    .language_version:
      - 2
      - 0
    .max_flat_workgroup_size: 256
    .name:           _ZN7rocprim17ROCPRIM_304000_NS6detail31onesweep_scan_histograms_kernelINS1_34wrapped_radix_sort_onesweep_configINS0_14default_configElN2at4cuda3cub6detail10OpaqueTypeILi1EEEEEmEEvPT0_
    .private_segment_fixed_size: 0
    .sgpr_count:     18
    .sgpr_spill_count: 0
    .symbol:         _ZN7rocprim17ROCPRIM_304000_NS6detail31onesweep_scan_histograms_kernelINS1_34wrapped_radix_sort_onesweep_configINS0_14default_configElN2at4cuda3cub6detail10OpaqueTypeILi1EEEEEmEEvPT0_.kd
    .uniform_work_group_size: 1
    .uses_dynamic_stack: false
    .vgpr_count:     12
    .vgpr_spill_count: 0
    .wavefront_size: 32
    .workgroup_processor_mode: 1
  - .args:
      - .address_space:  global
        .offset:         0
        .size:           8
        .value_kind:     global_buffer
      - .offset:         8
        .size:           8
        .value_kind:     by_value
      - .address_space:  global
        .offset:         16
        .size:           8
        .value_kind:     global_buffer
      - .offset:         24
        .size:           1
        .value_kind:     by_value
      - .offset:         32
        .size:           4
        .value_kind:     hidden_block_count_x
      - .offset:         36
        .size:           4
        .value_kind:     hidden_block_count_y
      - .offset:         40
        .size:           4
        .value_kind:     hidden_block_count_z
      - .offset:         44
        .size:           2
        .value_kind:     hidden_group_size_x
      - .offset:         46
        .size:           2
        .value_kind:     hidden_group_size_y
      - .offset:         48
        .size:           2
        .value_kind:     hidden_group_size_z
      - .offset:         50
        .size:           2
        .value_kind:     hidden_remainder_x
      - .offset:         52
        .size:           2
        .value_kind:     hidden_remainder_y
      - .offset:         54
        .size:           2
        .value_kind:     hidden_remainder_z
      - .offset:         72
        .size:           8
        .value_kind:     hidden_global_offset_x
      - .offset:         80
        .size:           8
        .value_kind:     hidden_global_offset_y
      - .offset:         88
        .size:           8
        .value_kind:     hidden_global_offset_z
      - .offset:         96
        .size:           2
        .value_kind:     hidden_grid_dims
    .group_segment_fixed_size: 0
    .kernarg_segment_align: 8
    .kernarg_segment_size: 288
    .language:       OpenCL C
    .language_version:
      - 2
      - 0
    .max_flat_workgroup_size: 512
    .name:           _ZN7rocprim17ROCPRIM_304000_NS6detail16transform_kernelINS1_24wrapped_transform_configINS0_14default_configElEElPKlPlNS0_8identityIlEEEEvT1_mT2_T3_
    .private_segment_fixed_size: 0
    .sgpr_count:     18
    .sgpr_spill_count: 0
    .symbol:         _ZN7rocprim17ROCPRIM_304000_NS6detail16transform_kernelINS1_24wrapped_transform_configINS0_14default_configElEElPKlPlNS0_8identityIlEEEEvT1_mT2_T3_.kd
    .uniform_work_group_size: 1
    .uses_dynamic_stack: false
    .vgpr_count:     5
    .vgpr_spill_count: 0
    .wavefront_size: 32
    .workgroup_processor_mode: 1
  - .args:
      - .address_space:  global
        .offset:         0
        .size:           8
        .value_kind:     global_buffer
      - .offset:         8
        .size:           8
        .value_kind:     by_value
      - .address_space:  global
        .offset:         16
        .size:           8
        .value_kind:     global_buffer
      - .offset:         24
        .size:           1
        .value_kind:     by_value
      - .offset:         32
        .size:           4
        .value_kind:     hidden_block_count_x
      - .offset:         36
        .size:           4
        .value_kind:     hidden_block_count_y
      - .offset:         40
        .size:           4
        .value_kind:     hidden_block_count_z
      - .offset:         44
        .size:           2
        .value_kind:     hidden_group_size_x
      - .offset:         46
        .size:           2
        .value_kind:     hidden_group_size_y
      - .offset:         48
        .size:           2
        .value_kind:     hidden_group_size_z
      - .offset:         50
        .size:           2
        .value_kind:     hidden_remainder_x
      - .offset:         52
        .size:           2
        .value_kind:     hidden_remainder_y
      - .offset:         54
        .size:           2
        .value_kind:     hidden_remainder_z
      - .offset:         72
        .size:           8
        .value_kind:     hidden_global_offset_x
      - .offset:         80
        .size:           8
        .value_kind:     hidden_global_offset_y
      - .offset:         88
        .size:           8
        .value_kind:     hidden_global_offset_z
      - .offset:         96
        .size:           2
        .value_kind:     hidden_grid_dims
    .group_segment_fixed_size: 0
    .kernarg_segment_align: 8
    .kernarg_segment_size: 288
    .language:       OpenCL C
    .language_version:
      - 2
      - 0
    .max_flat_workgroup_size: 1024
    .name:           _ZN7rocprim17ROCPRIM_304000_NS6detail16transform_kernelINS1_24wrapped_transform_configINS0_14default_configEN2at4cuda3cub6detail10OpaqueTypeILi1EEEEESA_PKSA_PSA_NS0_8identityISA_EEEEvT1_mT2_T3_
    .private_segment_fixed_size: 0
    .sgpr_count:     18
    .sgpr_spill_count: 0
    .symbol:         _ZN7rocprim17ROCPRIM_304000_NS6detail16transform_kernelINS1_24wrapped_transform_configINS0_14default_configEN2at4cuda3cub6detail10OpaqueTypeILi1EEEEESA_PKSA_PSA_NS0_8identityISA_EEEEvT1_mT2_T3_.kd
    .uniform_work_group_size: 1
    .uses_dynamic_stack: false
    .vgpr_count:     9
    .vgpr_spill_count: 0
    .wavefront_size: 32
    .workgroup_processor_mode: 1
  - .args:
      - .address_space:  global
        .offset:         0
        .size:           8
        .value_kind:     global_buffer
      - .address_space:  global
        .offset:         8
        .size:           8
        .value_kind:     global_buffer
      - .address_space:  global
        .offset:         16
        .size:           8
        .value_kind:     global_buffer
      - .address_space:  global
        .offset:         24
        .size:           8
        .value_kind:     global_buffer
      - .offset:         32
        .size:           4
        .value_kind:     by_value
      - .address_space:  global
        .offset:         40
        .size:           8
        .value_kind:     global_buffer
      - .address_space:  global
        .offset:         48
        .size:           8
        .value_kind:     global_buffer
      - .address_space:  global
        .offset:         56
        .size:           8
        .value_kind:     global_buffer
      - .offset:         64
        .size:           1
        .value_kind:     by_value
      - .offset:         68
        .size:           4
        .value_kind:     by_value
      - .offset:         72
        .size:           4
        .value_kind:     by_value
      - .offset:         76
        .size:           4
        .value_kind:     by_value
      - .offset:         80
        .size:           4
        .value_kind:     hidden_block_count_x
      - .offset:         84
        .size:           4
        .value_kind:     hidden_block_count_y
      - .offset:         88
        .size:           4
        .value_kind:     hidden_block_count_z
      - .offset:         92
        .size:           2
        .value_kind:     hidden_group_size_x
      - .offset:         94
        .size:           2
        .value_kind:     hidden_group_size_y
      - .offset:         96
        .size:           2
        .value_kind:     hidden_group_size_z
      - .offset:         98
        .size:           2
        .value_kind:     hidden_remainder_x
      - .offset:         100
        .size:           2
        .value_kind:     hidden_remainder_y
      - .offset:         102
        .size:           2
        .value_kind:     hidden_remainder_z
      - .offset:         120
        .size:           8
        .value_kind:     hidden_global_offset_x
      - .offset:         128
        .size:           8
        .value_kind:     hidden_global_offset_y
      - .offset:         136
        .size:           8
        .value_kind:     hidden_global_offset_z
      - .offset:         144
        .size:           2
        .value_kind:     hidden_grid_dims
    .group_segment_fixed_size: 34816
    .kernarg_segment_align: 8
    .kernarg_segment_size: 336
    .language:       OpenCL C
    .language_version:
      - 2
      - 0
    .max_flat_workgroup_size: 256
    .name:           _ZN7rocprim17ROCPRIM_304000_NS6detail25onesweep_iteration_kernelINS1_34wrapped_radix_sort_onesweep_configINS0_14default_configElN2at4cuda3cub6detail10OpaqueTypeILi1EEEEELb1EPKlPlPKSA_PSA_mNS0_19identity_decomposerEEEvT1_T2_T3_T4_jPT5_SO_PNS1_23onesweep_lookback_stateET6_jjj
    .private_segment_fixed_size: 0
    .sgpr_count:     59
    .sgpr_spill_count: 0
    .symbol:         _ZN7rocprim17ROCPRIM_304000_NS6detail25onesweep_iteration_kernelINS1_34wrapped_radix_sort_onesweep_configINS0_14default_configElN2at4cuda3cub6detail10OpaqueTypeILi1EEEEELb1EPKlPlPKSA_PSA_mNS0_19identity_decomposerEEEvT1_T2_T3_T4_jPT5_SO_PNS1_23onesweep_lookback_stateET6_jjj.kd
    .uniform_work_group_size: 1
    .uses_dynamic_stack: false
    .vgpr_count:     116
    .vgpr_spill_count: 0
    .wavefront_size: 32
    .workgroup_processor_mode: 1
  - .args:
      - .address_space:  global
        .offset:         0
        .size:           8
        .value_kind:     global_buffer
      - .address_space:  global
        .offset:         8
        .size:           8
        .value_kind:     global_buffer
      - .address_space:  global
        .offset:         16
        .size:           8
        .value_kind:     global_buffer
      - .address_space:  global
        .offset:         24
        .size:           8
        .value_kind:     global_buffer
      - .offset:         32
        .size:           4
        .value_kind:     by_value
      - .address_space:  global
        .offset:         40
        .size:           8
        .value_kind:     global_buffer
      - .address_space:  global
        .offset:         48
        .size:           8
        .value_kind:     global_buffer
      - .address_space:  global
        .offset:         56
        .size:           8
        .value_kind:     global_buffer
      - .offset:         64
        .size:           1
        .value_kind:     by_value
      - .offset:         68
        .size:           4
        .value_kind:     by_value
      - .offset:         72
        .size:           4
        .value_kind:     by_value
      - .offset:         76
        .size:           4
        .value_kind:     by_value
      - .offset:         80
        .size:           4
        .value_kind:     hidden_block_count_x
      - .offset:         84
        .size:           4
        .value_kind:     hidden_block_count_y
      - .offset:         88
        .size:           4
        .value_kind:     hidden_block_count_z
      - .offset:         92
        .size:           2
        .value_kind:     hidden_group_size_x
      - .offset:         94
        .size:           2
        .value_kind:     hidden_group_size_y
      - .offset:         96
        .size:           2
        .value_kind:     hidden_group_size_z
      - .offset:         98
        .size:           2
        .value_kind:     hidden_remainder_x
      - .offset:         100
        .size:           2
        .value_kind:     hidden_remainder_y
      - .offset:         102
        .size:           2
        .value_kind:     hidden_remainder_z
      - .offset:         120
        .size:           8
        .value_kind:     hidden_global_offset_x
      - .offset:         128
        .size:           8
        .value_kind:     hidden_global_offset_y
      - .offset:         136
        .size:           8
        .value_kind:     hidden_global_offset_z
      - .offset:         144
        .size:           2
        .value_kind:     hidden_grid_dims
    .group_segment_fixed_size: 34816
    .kernarg_segment_align: 8
    .kernarg_segment_size: 336
    .language:       OpenCL C
    .language_version:
      - 2
      - 0
    .max_flat_workgroup_size: 256
    .name:           _ZN7rocprim17ROCPRIM_304000_NS6detail25onesweep_iteration_kernelINS1_34wrapped_radix_sort_onesweep_configINS0_14default_configElN2at4cuda3cub6detail10OpaqueTypeILi1EEEEELb1EPlSC_PSA_SD_mNS0_19identity_decomposerEEEvT1_T2_T3_T4_jPT5_SK_PNS1_23onesweep_lookback_stateET6_jjj
    .private_segment_fixed_size: 0
    .sgpr_count:     59
    .sgpr_spill_count: 0
    .symbol:         _ZN7rocprim17ROCPRIM_304000_NS6detail25onesweep_iteration_kernelINS1_34wrapped_radix_sort_onesweep_configINS0_14default_configElN2at4cuda3cub6detail10OpaqueTypeILi1EEEEELb1EPlSC_PSA_SD_mNS0_19identity_decomposerEEEvT1_T2_T3_T4_jPT5_SK_PNS1_23onesweep_lookback_stateET6_jjj.kd
    .uniform_work_group_size: 1
    .uses_dynamic_stack: false
    .vgpr_count:     116
    .vgpr_spill_count: 0
    .wavefront_size: 32
    .workgroup_processor_mode: 1
  - .args:
      - .address_space:  global
        .offset:         0
        .size:           8
        .value_kind:     global_buffer
      - .address_space:  global
        .offset:         8
        .size:           8
        .value_kind:     global_buffer
      - .address_space:  global
        .offset:         16
        .size:           8
        .value_kind:     global_buffer
      - .address_space:  global
        .offset:         24
        .size:           8
        .value_kind:     global_buffer
      - .offset:         32
        .size:           4
        .value_kind:     by_value
      - .offset:         36
        .size:           1
        .value_kind:     by_value
      - .offset:         40
        .size:           4
        .value_kind:     by_value
      - .offset:         44
        .size:           4
        .value_kind:     by_value
      - .offset:         48
        .size:           4
        .value_kind:     hidden_block_count_x
      - .offset:         52
        .size:           4
        .value_kind:     hidden_block_count_y
      - .offset:         56
        .size:           4
        .value_kind:     hidden_block_count_z
      - .offset:         60
        .size:           2
        .value_kind:     hidden_group_size_x
      - .offset:         62
        .size:           2
        .value_kind:     hidden_group_size_y
      - .offset:         64
        .size:           2
        .value_kind:     hidden_group_size_z
      - .offset:         66
        .size:           2
        .value_kind:     hidden_remainder_x
      - .offset:         68
        .size:           2
        .value_kind:     hidden_remainder_y
      - .offset:         70
        .size:           2
        .value_kind:     hidden_remainder_z
      - .offset:         88
        .size:           8
        .value_kind:     hidden_global_offset_x
      - .offset:         96
        .size:           8
        .value_kind:     hidden_global_offset_y
      - .offset:         104
        .size:           8
        .value_kind:     hidden_global_offset_z
      - .offset:         112
        .size:           2
        .value_kind:     hidden_grid_dims
    .group_segment_fixed_size: 8224
    .kernarg_segment_align: 8
    .kernarg_segment_size: 304
    .language:       OpenCL C
    .language_version:
      - 2
      - 0
    .max_flat_workgroup_size: 256
    .name:           _ZN7rocprim17ROCPRIM_304000_NS6detail28radix_sort_block_sort_kernelINS1_36wrapped_radix_sort_block_sort_configINS0_13kernel_configILj256ELj4ELj4294967295EEElN2at4cuda3cub6detail10OpaqueTypeILi1EEEEELb0EPKlPlPKSB_PSB_NS0_19identity_decomposerEEEvT1_T2_T3_T4_jT5_jj
    .private_segment_fixed_size: 0
    .sgpr_count:     34
    .sgpr_spill_count: 0
    .symbol:         _ZN7rocprim17ROCPRIM_304000_NS6detail28radix_sort_block_sort_kernelINS1_36wrapped_radix_sort_block_sort_configINS0_13kernel_configILj256ELj4ELj4294967295EEElN2at4cuda3cub6detail10OpaqueTypeILi1EEEEELb0EPKlPlPKSB_PSB_NS0_19identity_decomposerEEEvT1_T2_T3_T4_jT5_jj.kd
    .uniform_work_group_size: 1
    .uses_dynamic_stack: false
    .vgpr_count:     53
    .vgpr_spill_count: 0
    .wavefront_size: 32
    .workgroup_processor_mode: 1
  - .args:
      - .address_space:  global
        .offset:         0
        .size:           8
        .value_kind:     global_buffer
      - .offset:         8
        .size:           4
        .value_kind:     by_value
      - .offset:         12
        .size:           4
        .value_kind:     by_value
      - .address_space:  global
        .offset:         16
        .size:           8
        .value_kind:     global_buffer
      - .offset:         24
        .size:           1
        .value_kind:     by_value
      - .offset:         28
        .size:           4
        .value_kind:     by_value
    .group_segment_fixed_size: 0
    .kernarg_segment_align: 8
    .kernarg_segment_size: 32
    .language:       OpenCL C
    .language_version:
      - 2
      - 0
    .max_flat_workgroup_size: 128
    .name:           _ZN7rocprim17ROCPRIM_304000_NS6detail45device_block_merge_mergepath_partition_kernelINS1_37wrapped_merge_sort_block_merge_configINS0_14default_configElN2at4cuda3cub6detail10OpaqueTypeILi1EEEEEPljNS1_19radix_merge_compareILb0ELb0ElNS0_19identity_decomposerEEEEEvT0_T1_jPSH_T2_SH_
    .private_segment_fixed_size: 0
    .sgpr_count:     18
    .sgpr_spill_count: 0
    .symbol:         _ZN7rocprim17ROCPRIM_304000_NS6detail45device_block_merge_mergepath_partition_kernelINS1_37wrapped_merge_sort_block_merge_configINS0_14default_configElN2at4cuda3cub6detail10OpaqueTypeILi1EEEEEPljNS1_19radix_merge_compareILb0ELb0ElNS0_19identity_decomposerEEEEEvT0_T1_jPSH_T2_SH_.kd
    .uniform_work_group_size: 1
    .uses_dynamic_stack: false
    .vgpr_count:     15
    .vgpr_spill_count: 0
    .wavefront_size: 32
    .workgroup_processor_mode: 1
  - .args:
      - .address_space:  global
        .offset:         0
        .size:           8
        .value_kind:     global_buffer
      - .address_space:  global
        .offset:         8
        .size:           8
        .value_kind:     global_buffer
      - .address_space:  global
        .offset:         16
        .size:           8
        .value_kind:     global_buffer
      - .address_space:  global
        .offset:         24
        .size:           8
        .value_kind:     global_buffer
      - .offset:         32
        .size:           4
        .value_kind:     by_value
      - .offset:         36
        .size:           4
        .value_kind:     by_value
      - .offset:         40
        .size:           4
        .value_kind:     by_value
      - .offset:         44
        .size:           1
        .value_kind:     by_value
      - .address_space:  global
        .offset:         48
        .size:           8
        .value_kind:     global_buffer
      - .address_space:  global
        .offset:         56
        .size:           8
        .value_kind:     global_buffer
      - .offset:         64
        .size:           4
        .value_kind:     hidden_block_count_x
      - .offset:         68
        .size:           4
        .value_kind:     hidden_block_count_y
      - .offset:         72
        .size:           4
        .value_kind:     hidden_block_count_z
      - .offset:         76
        .size:           2
        .value_kind:     hidden_group_size_x
      - .offset:         78
        .size:           2
        .value_kind:     hidden_group_size_y
      - .offset:         80
        .size:           2
        .value_kind:     hidden_group_size_z
      - .offset:         82
        .size:           2
        .value_kind:     hidden_remainder_x
      - .offset:         84
        .size:           2
        .value_kind:     hidden_remainder_y
      - .offset:         86
        .size:           2
        .value_kind:     hidden_remainder_z
      - .offset:         104
        .size:           8
        .value_kind:     hidden_global_offset_x
      - .offset:         112
        .size:           8
        .value_kind:     hidden_global_offset_y
      - .offset:         120
        .size:           8
        .value_kind:     hidden_global_offset_z
      - .offset:         128
        .size:           2
        .value_kind:     hidden_grid_dims
    .group_segment_fixed_size: 8448
    .kernarg_segment_align: 8
    .kernarg_segment_size: 320
    .language:       OpenCL C
    .language_version:
      - 2
      - 0
    .max_flat_workgroup_size: 512
    .name:           _ZN7rocprim17ROCPRIM_304000_NS6detail35device_block_merge_mergepath_kernelINS1_37wrapped_merge_sort_block_merge_configINS0_14default_configElN2at4cuda3cub6detail10OpaqueTypeILi1EEEEEPlSC_PSA_SD_jNS1_19radix_merge_compareILb0ELb0ElNS0_19identity_decomposerEEEEEvT0_T1_T2_T3_T4_SL_jT5_PKSL_NS1_7vsmem_tE
    .private_segment_fixed_size: 0
    .sgpr_count:     32
    .sgpr_spill_count: 0
    .symbol:         _ZN7rocprim17ROCPRIM_304000_NS6detail35device_block_merge_mergepath_kernelINS1_37wrapped_merge_sort_block_merge_configINS0_14default_configElN2at4cuda3cub6detail10OpaqueTypeILi1EEEEEPlSC_PSA_SD_jNS1_19radix_merge_compareILb0ELb0ElNS0_19identity_decomposerEEEEEvT0_T1_T2_T3_T4_SL_jT5_PKSL_NS1_7vsmem_tE.kd
    .uniform_work_group_size: 1
    .uses_dynamic_stack: false
    .vgpr_count:     16
    .vgpr_spill_count: 0
    .wavefront_size: 32
    .workgroup_processor_mode: 1
  - .args:
      - .address_space:  global
        .offset:         0
        .size:           8
        .value_kind:     global_buffer
      - .address_space:  global
        .offset:         8
        .size:           8
        .value_kind:     global_buffer
      - .address_space:  global
        .offset:         16
        .size:           8
        .value_kind:     global_buffer
      - .address_space:  global
        .offset:         24
        .size:           8
        .value_kind:     global_buffer
      - .offset:         32
        .size:           4
        .value_kind:     by_value
      - .offset:         36
        .size:           4
        .value_kind:     by_value
      - .offset:         40
        .size:           1
        .value_kind:     by_value
    .group_segment_fixed_size: 0
    .kernarg_segment_align: 8
    .kernarg_segment_size: 44
    .language:       OpenCL C
    .language_version:
      - 2
      - 0
    .max_flat_workgroup_size: 256
    .name:           _ZN7rocprim17ROCPRIM_304000_NS6detail33device_block_merge_oddeven_kernelINS1_37wrapped_merge_sort_block_merge_configINS0_14default_configElN2at4cuda3cub6detail10OpaqueTypeILi1EEEEEPlSC_PSA_SD_jNS1_19radix_merge_compareILb0ELb0ElNS0_19identity_decomposerEEEEEvT0_T1_T2_T3_T4_SL_T5_
    .private_segment_fixed_size: 0
    .sgpr_count:     20
    .sgpr_spill_count: 0
    .symbol:         _ZN7rocprim17ROCPRIM_304000_NS6detail33device_block_merge_oddeven_kernelINS1_37wrapped_merge_sort_block_merge_configINS0_14default_configElN2at4cuda3cub6detail10OpaqueTypeILi1EEEEEPlSC_PSA_SD_jNS1_19radix_merge_compareILb0ELb0ElNS0_19identity_decomposerEEEEEvT0_T1_T2_T3_T4_SL_T5_.kd
    .uniform_work_group_size: 1
    .uses_dynamic_stack: false
    .vgpr_count:     11
    .vgpr_spill_count: 0
    .wavefront_size: 32
    .workgroup_processor_mode: 1
  - .args:
      - .address_space:  global
        .offset:         0
        .size:           8
        .value_kind:     global_buffer
      - .offset:         8
        .size:           4
        .value_kind:     by_value
      - .offset:         12
        .size:           4
        .value_kind:     by_value
      - .address_space:  global
        .offset:         16
        .size:           8
        .value_kind:     global_buffer
      - .offset:         24
        .size:           8
        .value_kind:     by_value
      - .offset:         32
        .size:           4
        .value_kind:     by_value
    .group_segment_fixed_size: 0
    .kernarg_segment_align: 8
    .kernarg_segment_size: 36
    .language:       OpenCL C
    .language_version:
      - 2
      - 0
    .max_flat_workgroup_size: 128
    .name:           _ZN7rocprim17ROCPRIM_304000_NS6detail45device_block_merge_mergepath_partition_kernelINS1_37wrapped_merge_sort_block_merge_configINS0_14default_configElN2at4cuda3cub6detail10OpaqueTypeILi1EEEEEPljNS1_19radix_merge_compareILb0ELb1ElNS0_19identity_decomposerEEEEEvT0_T1_jPSH_T2_SH_
    .private_segment_fixed_size: 0
    .sgpr_count:     18
    .sgpr_spill_count: 0
    .symbol:         _ZN7rocprim17ROCPRIM_304000_NS6detail45device_block_merge_mergepath_partition_kernelINS1_37wrapped_merge_sort_block_merge_configINS0_14default_configElN2at4cuda3cub6detail10OpaqueTypeILi1EEEEEPljNS1_19radix_merge_compareILb0ELb1ElNS0_19identity_decomposerEEEEEvT0_T1_jPSH_T2_SH_.kd
    .uniform_work_group_size: 1
    .uses_dynamic_stack: false
    .vgpr_count:     15
    .vgpr_spill_count: 0
    .wavefront_size: 32
    .workgroup_processor_mode: 1
  - .args:
      - .address_space:  global
        .offset:         0
        .size:           8
        .value_kind:     global_buffer
      - .address_space:  global
        .offset:         8
        .size:           8
        .value_kind:     global_buffer
      - .address_space:  global
        .offset:         16
        .size:           8
        .value_kind:     global_buffer
      - .address_space:  global
        .offset:         24
        .size:           8
        .value_kind:     global_buffer
      - .offset:         32
        .size:           4
        .value_kind:     by_value
      - .offset:         36
        .size:           4
        .value_kind:     by_value
      - .offset:         40
        .size:           4
        .value_kind:     by_value
      - .offset:         48
        .size:           8
        .value_kind:     by_value
      - .address_space:  global
        .offset:         56
        .size:           8
        .value_kind:     global_buffer
      - .address_space:  global
        .offset:         64
        .size:           8
        .value_kind:     global_buffer
      - .offset:         72
        .size:           4
        .value_kind:     hidden_block_count_x
      - .offset:         76
        .size:           4
        .value_kind:     hidden_block_count_y
      - .offset:         80
        .size:           4
        .value_kind:     hidden_block_count_z
      - .offset:         84
        .size:           2
        .value_kind:     hidden_group_size_x
      - .offset:         86
        .size:           2
        .value_kind:     hidden_group_size_y
      - .offset:         88
        .size:           2
        .value_kind:     hidden_group_size_z
      - .offset:         90
        .size:           2
        .value_kind:     hidden_remainder_x
      - .offset:         92
        .size:           2
        .value_kind:     hidden_remainder_y
      - .offset:         94
        .size:           2
        .value_kind:     hidden_remainder_z
      - .offset:         112
        .size:           8
        .value_kind:     hidden_global_offset_x
      - .offset:         120
        .size:           8
        .value_kind:     hidden_global_offset_y
      - .offset:         128
        .size:           8
        .value_kind:     hidden_global_offset_z
      - .offset:         136
        .size:           2
        .value_kind:     hidden_grid_dims
    .group_segment_fixed_size: 8448
    .kernarg_segment_align: 8
    .kernarg_segment_size: 328
    .language:       OpenCL C
    .language_version:
      - 2
      - 0
    .max_flat_workgroup_size: 512
    .name:           _ZN7rocprim17ROCPRIM_304000_NS6detail35device_block_merge_mergepath_kernelINS1_37wrapped_merge_sort_block_merge_configINS0_14default_configElN2at4cuda3cub6detail10OpaqueTypeILi1EEEEEPlSC_PSA_SD_jNS1_19radix_merge_compareILb0ELb1ElNS0_19identity_decomposerEEEEEvT0_T1_T2_T3_T4_SL_jT5_PKSL_NS1_7vsmem_tE
    .private_segment_fixed_size: 0
    .sgpr_count:     34
    .sgpr_spill_count: 0
    .symbol:         _ZN7rocprim17ROCPRIM_304000_NS6detail35device_block_merge_mergepath_kernelINS1_37wrapped_merge_sort_block_merge_configINS0_14default_configElN2at4cuda3cub6detail10OpaqueTypeILi1EEEEEPlSC_PSA_SD_jNS1_19radix_merge_compareILb0ELb1ElNS0_19identity_decomposerEEEEEvT0_T1_T2_T3_T4_SL_jT5_PKSL_NS1_7vsmem_tE.kd
    .uniform_work_group_size: 1
    .uses_dynamic_stack: false
    .vgpr_count:     19
    .vgpr_spill_count: 0
    .wavefront_size: 32
    .workgroup_processor_mode: 1
  - .args:
      - .address_space:  global
        .offset:         0
        .size:           8
        .value_kind:     global_buffer
      - .address_space:  global
        .offset:         8
        .size:           8
        .value_kind:     global_buffer
      - .address_space:  global
        .offset:         16
        .size:           8
        .value_kind:     global_buffer
      - .address_space:  global
        .offset:         24
        .size:           8
        .value_kind:     global_buffer
      - .offset:         32
        .size:           4
        .value_kind:     by_value
      - .offset:         36
        .size:           4
        .value_kind:     by_value
      - .offset:         40
        .size:           8
        .value_kind:     by_value
    .group_segment_fixed_size: 0
    .kernarg_segment_align: 8
    .kernarg_segment_size: 48
    .language:       OpenCL C
    .language_version:
      - 2
      - 0
    .max_flat_workgroup_size: 256
    .name:           _ZN7rocprim17ROCPRIM_304000_NS6detail33device_block_merge_oddeven_kernelINS1_37wrapped_merge_sort_block_merge_configINS0_14default_configElN2at4cuda3cub6detail10OpaqueTypeILi1EEEEEPlSC_PSA_SD_jNS1_19radix_merge_compareILb0ELb1ElNS0_19identity_decomposerEEEEEvT0_T1_T2_T3_T4_SL_T5_
    .private_segment_fixed_size: 0
    .sgpr_count:     22
    .sgpr_spill_count: 0
    .symbol:         _ZN7rocprim17ROCPRIM_304000_NS6detail33device_block_merge_oddeven_kernelINS1_37wrapped_merge_sort_block_merge_configINS0_14default_configElN2at4cuda3cub6detail10OpaqueTypeILi1EEEEEPlSC_PSA_SD_jNS1_19radix_merge_compareILb0ELb1ElNS0_19identity_decomposerEEEEEvT0_T1_T2_T3_T4_SL_T5_.kd
    .uniform_work_group_size: 1
    .uses_dynamic_stack: false
    .vgpr_count:     13
    .vgpr_spill_count: 0
    .wavefront_size: 32
    .workgroup_processor_mode: 1
  - .args:
      - .address_space:  global
        .offset:         0
        .size:           8
        .value_kind:     global_buffer
      - .address_space:  global
        .offset:         8
        .size:           8
        .value_kind:     global_buffer
      - .offset:         16
        .size:           8
        .value_kind:     by_value
      - .offset:         24
        .size:           8
        .value_kind:     by_value
      - .offset:         32
        .size:           1
        .value_kind:     by_value
      - .offset:         36
        .size:           4
        .value_kind:     by_value
      - .offset:         40
        .size:           4
        .value_kind:     by_value
    .group_segment_fixed_size: 32768
    .kernarg_segment_align: 8
    .kernarg_segment_size: 44
    .language:       OpenCL C
    .language_version:
      - 2
      - 0
    .max_flat_workgroup_size: 256
    .name:           _ZN7rocprim17ROCPRIM_304000_NS6detail26onesweep_histograms_kernelINS1_34wrapped_radix_sort_onesweep_configINS0_14default_configElN2at4cuda3cub6detail10OpaqueTypeILi1EEEEELb0EPKlmNS0_19identity_decomposerEEEvT1_PT2_SG_SG_T3_jj
    .private_segment_fixed_size: 0
    .sgpr_count:     29
    .sgpr_spill_count: 0
    .symbol:         _ZN7rocprim17ROCPRIM_304000_NS6detail26onesweep_histograms_kernelINS1_34wrapped_radix_sort_onesweep_configINS0_14default_configElN2at4cuda3cub6detail10OpaqueTypeILi1EEEEELb0EPKlmNS0_19identity_decomposerEEEvT1_PT2_SG_SG_T3_jj.kd
    .uniform_work_group_size: 1
    .uses_dynamic_stack: false
    .vgpr_count:     46
    .vgpr_spill_count: 0
    .wavefront_size: 32
    .workgroup_processor_mode: 1
  - .args:
      - .address_space:  global
        .offset:         0
        .size:           8
        .value_kind:     global_buffer
      - .address_space:  global
        .offset:         8
        .size:           8
        .value_kind:     global_buffer
      - .address_space:  global
        .offset:         16
        .size:           8
        .value_kind:     global_buffer
      - .address_space:  global
        .offset:         24
        .size:           8
        .value_kind:     global_buffer
      - .offset:         32
        .size:           4
        .value_kind:     by_value
      - .address_space:  global
        .offset:         40
        .size:           8
        .value_kind:     global_buffer
      - .address_space:  global
        .offset:         48
        .size:           8
        .value_kind:     global_buffer
      - .address_space:  global
        .offset:         56
        .size:           8
        .value_kind:     global_buffer
      - .offset:         64
        .size:           1
        .value_kind:     by_value
      - .offset:         68
        .size:           4
        .value_kind:     by_value
      - .offset:         72
        .size:           4
        .value_kind:     by_value
      - .offset:         76
        .size:           4
        .value_kind:     by_value
      - .offset:         80
        .size:           4
        .value_kind:     hidden_block_count_x
      - .offset:         84
        .size:           4
        .value_kind:     hidden_block_count_y
      - .offset:         88
        .size:           4
        .value_kind:     hidden_block_count_z
      - .offset:         92
        .size:           2
        .value_kind:     hidden_group_size_x
      - .offset:         94
        .size:           2
        .value_kind:     hidden_group_size_y
      - .offset:         96
        .size:           2
        .value_kind:     hidden_group_size_z
      - .offset:         98
        .size:           2
        .value_kind:     hidden_remainder_x
      - .offset:         100
        .size:           2
        .value_kind:     hidden_remainder_y
      - .offset:         102
        .size:           2
        .value_kind:     hidden_remainder_z
      - .offset:         120
        .size:           8
        .value_kind:     hidden_global_offset_x
      - .offset:         128
        .size:           8
        .value_kind:     hidden_global_offset_y
      - .offset:         136
        .size:           8
        .value_kind:     hidden_global_offset_z
      - .offset:         144
        .size:           2
        .value_kind:     hidden_grid_dims
    .group_segment_fixed_size: 34816
    .kernarg_segment_align: 8
    .kernarg_segment_size: 336
    .language:       OpenCL C
    .language_version:
      - 2
      - 0
    .max_flat_workgroup_size: 256
    .name:           _ZN7rocprim17ROCPRIM_304000_NS6detail25onesweep_iteration_kernelINS1_34wrapped_radix_sort_onesweep_configINS0_14default_configElN2at4cuda3cub6detail10OpaqueTypeILi1EEEEELb0EPKlPlPKSA_PSA_mNS0_19identity_decomposerEEEvT1_T2_T3_T4_jPT5_SO_PNS1_23onesweep_lookback_stateET6_jjj
    .private_segment_fixed_size: 0
    .sgpr_count:     59
    .sgpr_spill_count: 0
    .symbol:         _ZN7rocprim17ROCPRIM_304000_NS6detail25onesweep_iteration_kernelINS1_34wrapped_radix_sort_onesweep_configINS0_14default_configElN2at4cuda3cub6detail10OpaqueTypeILi1EEEEELb0EPKlPlPKSA_PSA_mNS0_19identity_decomposerEEEvT1_T2_T3_T4_jPT5_SO_PNS1_23onesweep_lookback_stateET6_jjj.kd
    .uniform_work_group_size: 1
    .uses_dynamic_stack: false
    .vgpr_count:     116
    .vgpr_spill_count: 0
    .wavefront_size: 32
    .workgroup_processor_mode: 1
  - .args:
      - .address_space:  global
        .offset:         0
        .size:           8
        .value_kind:     global_buffer
      - .address_space:  global
        .offset:         8
        .size:           8
        .value_kind:     global_buffer
      - .address_space:  global
        .offset:         16
        .size:           8
        .value_kind:     global_buffer
      - .address_space:  global
        .offset:         24
        .size:           8
        .value_kind:     global_buffer
      - .offset:         32
        .size:           4
        .value_kind:     by_value
      - .address_space:  global
        .offset:         40
        .size:           8
        .value_kind:     global_buffer
      - .address_space:  global
        .offset:         48
        .size:           8
        .value_kind:     global_buffer
      - .address_space:  global
        .offset:         56
        .size:           8
        .value_kind:     global_buffer
      - .offset:         64
        .size:           1
        .value_kind:     by_value
      - .offset:         68
        .size:           4
        .value_kind:     by_value
      - .offset:         72
        .size:           4
        .value_kind:     by_value
      - .offset:         76
        .size:           4
        .value_kind:     by_value
      - .offset:         80
        .size:           4
        .value_kind:     hidden_block_count_x
      - .offset:         84
        .size:           4
        .value_kind:     hidden_block_count_y
      - .offset:         88
        .size:           4
        .value_kind:     hidden_block_count_z
      - .offset:         92
        .size:           2
        .value_kind:     hidden_group_size_x
      - .offset:         94
        .size:           2
        .value_kind:     hidden_group_size_y
      - .offset:         96
        .size:           2
        .value_kind:     hidden_group_size_z
      - .offset:         98
        .size:           2
        .value_kind:     hidden_remainder_x
      - .offset:         100
        .size:           2
        .value_kind:     hidden_remainder_y
      - .offset:         102
        .size:           2
        .value_kind:     hidden_remainder_z
      - .offset:         120
        .size:           8
        .value_kind:     hidden_global_offset_x
      - .offset:         128
        .size:           8
        .value_kind:     hidden_global_offset_y
      - .offset:         136
        .size:           8
        .value_kind:     hidden_global_offset_z
      - .offset:         144
        .size:           2
        .value_kind:     hidden_grid_dims
    .group_segment_fixed_size: 34816
    .kernarg_segment_align: 8
    .kernarg_segment_size: 336
    .language:       OpenCL C
    .language_version:
      - 2
      - 0
    .max_flat_workgroup_size: 256
    .name:           _ZN7rocprim17ROCPRIM_304000_NS6detail25onesweep_iteration_kernelINS1_34wrapped_radix_sort_onesweep_configINS0_14default_configElN2at4cuda3cub6detail10OpaqueTypeILi1EEEEELb0EPlSC_PSA_SD_mNS0_19identity_decomposerEEEvT1_T2_T3_T4_jPT5_SK_PNS1_23onesweep_lookback_stateET6_jjj
    .private_segment_fixed_size: 0
    .sgpr_count:     59
    .sgpr_spill_count: 0
    .symbol:         _ZN7rocprim17ROCPRIM_304000_NS6detail25onesweep_iteration_kernelINS1_34wrapped_radix_sort_onesweep_configINS0_14default_configElN2at4cuda3cub6detail10OpaqueTypeILi1EEEEELb0EPlSC_PSA_SD_mNS0_19identity_decomposerEEEvT1_T2_T3_T4_jPT5_SK_PNS1_23onesweep_lookback_stateET6_jjj.kd
    .uniform_work_group_size: 1
    .uses_dynamic_stack: false
    .vgpr_count:     116
    .vgpr_spill_count: 0
    .wavefront_size: 32
    .workgroup_processor_mode: 1
amdhsa.target:   amdgcn-amd-amdhsa--gfx1100
amdhsa.version:
  - 1
  - 2
...

	.end_amdgpu_metadata
